;; amdgpu-corpus repo=ROCm/rocFFT kind=compiled arch=gfx906 opt=O3
	.text
	.amdgcn_target "amdgcn-amd-amdhsa--gfx906"
	.amdhsa_code_object_version 6
	.protected	bluestein_single_back_len1960_dim1_dp_op_CI_CI ; -- Begin function bluestein_single_back_len1960_dim1_dp_op_CI_CI
	.globl	bluestein_single_back_len1960_dim1_dp_op_CI_CI
	.p2align	8
	.type	bluestein_single_back_len1960_dim1_dp_op_CI_CI,@function
bluestein_single_back_len1960_dim1_dp_op_CI_CI: ; @bluestein_single_back_len1960_dim1_dp_op_CI_CI
; %bb.0:
	s_load_dwordx4 s[8:11], s[4:5], 0x28
	s_mov_b64 s[38:39], s[2:3]
	v_mul_u32_u24_e32 v1, 0x493, v0
	v_mov_b32_e32 v113, 0
	s_mov_b64 s[36:37], s[0:1]
	v_add_u32_sdwa v4, s6, v1 dst_sel:DWORD dst_unused:UNUSED_PAD src0_sel:DWORD src1_sel:WORD_1
	v_mov_b32_e32 v5, v113
	s_add_u32 s36, s36, s7
	s_waitcnt lgkmcnt(0)
	v_cmp_gt_u64_e32 vcc, s[8:9], v[4:5]
	s_addc_u32 s37, s37, 0
	s_and_saveexec_b64 s[0:1], vcc
	s_cbranch_execz .LBB0_23
; %bb.1:
	s_load_dwordx4 s[0:3], s[4:5], 0x18
	s_load_dwordx2 s[6:7], s[4:5], 0x0
	v_mov_b32_e32 v2, 56
	v_mul_lo_u16_sdwa v1, v1, v2 dst_sel:DWORD dst_unused:UNUSED_PAD src0_sel:WORD_1 src1_sel:DWORD
	v_sub_u16_e32 v193, v0, v1
	s_waitcnt lgkmcnt(0)
	s_load_dwordx4 s[12:15], s[0:1], 0x0
	v_mov_b32_e32 v5, v4
	buffer_store_dword v5, off, s[36:39], 0 offset:36 ; 4-byte Folded Spill
	s_nop 0
	buffer_store_dword v6, off, s[36:39], 0 offset:40 ; 4-byte Folded Spill
	v_lshlrev_b32_e32 v192, 4, v193
	s_movk_i32 s8, 0x2000
	s_waitcnt lgkmcnt(0)
	v_mad_u64_u32 v[0:1], s[0:1], s14, v4, 0
	v_mad_u64_u32 v[2:3], s[0:1], s12, v193, 0
	;; [unrolled: 1-line block ×4, first 2 shown]
	v_mov_b32_e32 v1, v4
	v_lshlrev_b64 v[0:1], 4, v[0:1]
	v_mov_b32_e32 v6, s11
	v_mov_b32_e32 v3, v5
	v_add_co_u32_e32 v76, vcc, s10, v0
	v_addc_co_u32_e32 v77, vcc, v6, v1, vcc
	v_lshlrev_b64 v[0:1], 4, v[2:3]
	s_mul_i32 s0, s13, 0x1ea
	v_add_co_u32_e32 v8, vcc, v76, v0
	v_addc_co_u32_e32 v9, vcc, v77, v1, vcc
	s_mul_hi_u32 s1, s12, 0x1ea
	v_mov_b32_e32 v0, s7
	v_add_co_u32_e32 v97, vcc, s6, v192
	s_add_i32 s1, s1, s0
	s_mul_i32 s0, s12, 0x1ea
	v_addc_co_u32_e32 v98, vcc, 0, v0, vcc
	s_lshl_b64 s[16:17], s[0:1], 4
	v_mov_b32_e32 v78, s17
	v_add_co_u32_e32 v10, vcc, s16, v8
	v_addc_co_u32_e32 v11, vcc, v9, v78, vcc
	s_movk_i32 s0, 0x1000
	v_add_co_u32_e32 v68, vcc, s0, v97
	v_addc_co_u32_e32 v69, vcc, 0, v98, vcc
	v_add_co_u32_e32 v12, vcc, s16, v10
	v_addc_co_u32_e32 v13, vcc, v11, v78, vcc
	s_movk_i32 s0, 0x3000
	v_add_co_u32_e32 v64, vcc, s0, v97
	v_addc_co_u32_e32 v65, vcc, 0, v98, vcc
	v_add_co_u32_e32 v16, vcc, s16, v12
	v_addc_co_u32_e32 v17, vcc, v13, v78, vcc
	s_movk_i32 s0, 0x5000
	s_mul_hi_u32 s1, s12, 0xffffa7a0
	v_add_co_u32_e32 v66, vcc, s0, v97
	s_mul_i32 s0, s13, 0xffffa7a0
	s_sub_i32 s1, s1, s12
	v_addc_co_u32_e32 v67, vcc, 0, v98, vcc
	s_add_i32 s0, s1, s0
	s_mul_i32 s1, s12, 0xffffa7a0
	v_mov_b32_e32 v18, s0
	v_add_co_u32_e32 v20, vcc, s1, v16
	v_addc_co_u32_e32 v21, vcc, v17, v18, vcc
	global_load_dwordx4 v[0:3], v[8:9], off
	global_load_dwordx4 v[4:7], v[10:11], off
	global_load_dwordx4 v[114:117], v[68:69], off offset:3744
	global_load_dwordx4 v[118:121], v[64:65], off offset:3392
	;; [unrolled: 1-line block ×3, first 2 shown]
	v_add_co_u32_e32 v24, vcc, s16, v20
	global_load_dwordx4 v[8:11], v[12:13], off
	v_addc_co_u32_e32 v25, vcc, v21, v78, vcc
	global_load_dwordx4 v[12:15], v[16:17], off
	s_nop 0
	global_load_dwordx4 v[16:19], v[20:21], off
	global_load_dwordx4 v[162:165], v192, s[6:7]
	global_load_dwordx4 v[138:141], v192, s[6:7] offset:896
	v_add_co_u32_e32 v72, vcc, s8, v97
	v_addc_co_u32_e32 v73, vcc, 0, v98, vcc
	v_add_co_u32_e32 v28, vcc, s16, v24
	v_addc_co_u32_e32 v29, vcc, v25, v78, vcc
	s_movk_i32 s8, 0x4000
	v_add_co_u32_e32 v70, vcc, s8, v97
	v_addc_co_u32_e32 v71, vcc, 0, v98, vcc
	v_add_co_u32_e32 v32, vcc, s16, v28
	v_addc_co_u32_e32 v33, vcc, v29, v78, vcc
	v_mov_b32_e32 v34, s0
	v_add_co_u32_e32 v36, vcc, s1, v32
	v_addc_co_u32_e32 v37, vcc, v33, v34, vcc
	v_add_co_u32_e32 v40, vcc, s16, v36
	v_addc_co_u32_e32 v41, vcc, v37, v78, vcc
	global_load_dwordx4 v[20:23], v[24:25], off
	global_load_dwordx4 v[150:153], v[72:73], off offset:544
	global_load_dwordx4 v[158:161], v[70:71], off offset:192
	s_movk_i32 s8, 0x6000
	global_load_dwordx4 v[24:27], v[28:29], off
	s_nop 0
	global_load_dwordx4 v[28:31], v[32:33], off
	global_load_dwordx4 v[154:157], v[66:67], off offset:3936
	s_nop 0
	global_load_dwordx4 v[32:35], v[36:37], off
	global_load_dwordx4 v[122:125], v192, s[6:7] offset:1792
	s_nop 0
	global_load_dwordx4 v[36:39], v[40:41], off
	global_load_dwordx4 v[107:110], v[72:73], off offset:1440
	v_add_co_u32_e32 v40, vcc, s16, v40
	v_addc_co_u32_e32 v41, vcc, v41, v78, vcc
	global_load_dwordx4 v[44:47], v[40:41], off
	global_load_dwordx4 v[99:102], v[70:71], off offset:1088
	v_add_co_u32_e32 v40, vcc, s16, v40
	v_addc_co_u32_e32 v41, vcc, v41, v78, vcc
	v_add_co_u32_e32 v74, vcc, s8, v97
	v_addc_co_u32_e32 v75, vcc, 0, v98, vcc
	global_load_dwordx4 v[52:55], v[40:41], off
	v_mov_b32_e32 v42, s0
	v_add_co_u32_e32 v40, vcc, s1, v40
	v_addc_co_u32_e32 v41, vcc, v41, v42, vcc
	global_load_dwordx4 v[103:106], v[74:75], off offset:736
	global_load_dwordx4 v[56:59], v[40:41], off
	global_load_dwordx4 v[130:133], v192, s[6:7] offset:2688
	v_add_co_u32_e32 v40, vcc, s16, v40
	v_addc_co_u32_e32 v41, vcc, v41, v78, vcc
	v_add_co_u32_e32 v48, vcc, s16, v40
	v_addc_co_u32_e32 v49, vcc, v41, v78, vcc
	;; [unrolled: 2-line block ×3, first 2 shown]
	global_load_dwordx4 v[60:63], v[40:41], off
	global_load_dwordx4 v[134:137], v[72:73], off offset:2336
	s_nop 0
	global_load_dwordx4 v[40:43], v[48:49], off
	global_load_dwordx4 v[146:149], v[70:71], off offset:1984
	s_nop 0
	global_load_dwordx4 v[48:51], v[79:80], off
	global_load_dwordx4 v[142:145], v[74:75], off offset:1632
	s_waitcnt vmcnt(29)
	v_mul_f64 v[85:86], v[6:7], v[116:117]
	v_mul_f64 v[87:88], v[4:5], v[116:117]
	s_movk_i32 s8, 0x7000
	s_waitcnt vmcnt(26)
	v_mul_f64 v[89:90], v[10:11], v[120:121]
	v_mul_f64 v[91:92], v[8:9], v[120:121]
	s_waitcnt vmcnt(23)
	v_mul_f64 v[81:82], v[2:3], v[164:165]
	v_mul_f64 v[93:94], v[14:15], v[128:129]
	;; [unrolled: 1-line block ×3, first 2 shown]
	v_fma_f64 v[4:5], v[4:5], v[114:115], v[85:86]
	v_mul_f64 v[95:96], v[12:13], v[128:129]
	v_fma_f64 v[8:9], v[8:9], v[118:119], v[89:90]
	v_fma_f64 v[0:1], v[0:1], v[162:163], v[81:82]
	buffer_store_dword v162, off, s[36:39], 0 offset:380 ; 4-byte Folded Spill
	s_nop 0
	buffer_store_dword v163, off, s[36:39], 0 offset:384 ; 4-byte Folded Spill
	buffer_store_dword v164, off, s[36:39], 0 offset:388 ; 4-byte Folded Spill
	buffer_store_dword v165, off, s[36:39], 0 offset:392 ; 4-byte Folded Spill
	buffer_store_dword v114, off, s[36:39], 0 offset:124 ; 4-byte Folded Spill
	s_nop 0
	buffer_store_dword v115, off, s[36:39], 0 offset:128 ; 4-byte Folded Spill
	buffer_store_dword v116, off, s[36:39], 0 offset:132 ; 4-byte Folded Spill
	buffer_store_dword v117, off, s[36:39], 0 offset:136 ; 4-byte Folded Spill
	buffer_store_dword v118, off, s[36:39], 0 offset:140 ; 4-byte Folded Spill
	s_nop 0
	buffer_store_dword v119, off, s[36:39], 0 offset:144 ; 4-byte Folded Spill
	buffer_store_dword v120, off, s[36:39], 0 offset:148 ; 4-byte Folded Spill
	buffer_store_dword v121, off, s[36:39], 0 offset:152 ; 4-byte Folded Spill
	v_fma_f64 v[12:13], v[12:13], v[126:127], v[93:94]
	buffer_store_dword v126, off, s[36:39], 0 offset:172 ; 4-byte Folded Spill
	s_nop 0
	buffer_store_dword v127, off, s[36:39], 0 offset:176 ; 4-byte Folded Spill
	buffer_store_dword v128, off, s[36:39], 0 offset:180 ; 4-byte Folded Spill
	;; [unrolled: 1-line block ×3, first 2 shown]
	s_waitcnt vmcnt(16)
	v_mul_f64 v[111:112], v[50:51], v[144:145]
	v_fma_f64 v[2:3], v[2:3], v[162:163], -v[83:84]
	v_fma_f64 v[6:7], v[6:7], v[114:115], -v[87:88]
	;; [unrolled: 1-line block ×3, first 2 shown]
	global_load_dwordx4 v[118:121], v[68:69], off offset:2176
	global_load_dwordx4 v[114:117], v[64:65], off offset:1824
	v_fma_f64 v[14:15], v[14:15], v[126:127], -v[95:96]
	ds_write_b128 v192, v[0:3]
	ds_write_b128 v192, v[4:7] offset:7840
	ds_write_b128 v192, v[8:11] offset:15680
	;; [unrolled: 1-line block ×3, first 2 shown]
	v_mul_f64 v[0:1], v[18:19], v[140:141]
	v_mul_f64 v[4:5], v[22:23], v[152:153]
	;; [unrolled: 1-line block ×8, first 2 shown]
	v_fma_f64 v[0:1], v[16:17], v[138:139], v[0:1]
	buffer_store_dword v138, off, s[36:39], 0 offset:220 ; 4-byte Folded Spill
	s_nop 0
	buffer_store_dword v139, off, s[36:39], 0 offset:224 ; 4-byte Folded Spill
	buffer_store_dword v140, off, s[36:39], 0 offset:228 ; 4-byte Folded Spill
	buffer_store_dword v141, off, s[36:39], 0 offset:232 ; 4-byte Folded Spill
	v_fma_f64 v[4:5], v[20:21], v[150:151], v[4:5]
	buffer_store_dword v150, off, s[36:39], 0 offset:268 ; 4-byte Folded Spill
	s_nop 0
	buffer_store_dword v151, off, s[36:39], 0 offset:272 ; 4-byte Folded Spill
	buffer_store_dword v152, off, s[36:39], 0 offset:276 ; 4-byte Folded Spill
	buffer_store_dword v153, off, s[36:39], 0 offset:280 ; 4-byte Folded Spill
	;; [unrolled: 6-line block ×4, first 2 shown]
	v_mul_f64 v[16:17], v[34:35], v[124:125]
	v_mul_f64 v[20:21], v[38:39], v[109:110]
	;; [unrolled: 1-line block ×3, first 2 shown]
	v_fma_f64 v[24:25], v[60:61], v[134:135], v[24:25]
	v_fma_f64 v[2:3], v[18:19], v[138:139], -v[2:3]
	v_mul_f64 v[18:19], v[32:33], v[124:125]
	v_fma_f64 v[6:7], v[22:23], v[150:151], -v[6:7]
	v_mul_f64 v[22:23], v[36:37], v[109:110]
	;; [unrolled: 2-line block ×3, first 2 shown]
	v_fma_f64 v[14:15], v[30:31], v[154:155], -v[14:15]
	ds_write_b128 v192, v[0:3] offset:896
	ds_write_b128 v192, v[4:7] offset:8736
	;; [unrolled: 1-line block ×4, first 2 shown]
	v_fma_f64 v[4:5], v[32:33], v[122:123], v[16:17]
	buffer_store_dword v122, off, s[36:39], 0 offset:156 ; 4-byte Folded Spill
	s_nop 0
	buffer_store_dword v123, off, s[36:39], 0 offset:160 ; 4-byte Folded Spill
	buffer_store_dword v124, off, s[36:39], 0 offset:164 ; 4-byte Folded Spill
	;; [unrolled: 1-line block ×3, first 2 shown]
	v_fma_f64 v[8:9], v[36:37], v[107:108], v[20:21]
	buffer_store_dword v107, off, s[36:39], 0 offset:108 ; 4-byte Folded Spill
	s_nop 0
	buffer_store_dword v108, off, s[36:39], 0 offset:112 ; 4-byte Folded Spill
	buffer_store_dword v109, off, s[36:39], 0 offset:116 ; 4-byte Folded Spill
	;; [unrolled: 1-line block ×3, first 2 shown]
	v_mul_f64 v[0:1], v[46:47], v[101:102]
	v_mul_f64 v[16:17], v[54:55], v[105:106]
	;; [unrolled: 1-line block ×4, first 2 shown]
	global_load_dwordx4 v[178:181], v[72:73], off offset:3232
	v_mul_f64 v[109:110], v[40:41], v[148:149]
	v_fma_f64 v[12:13], v[44:45], v[99:100], v[0:1]
	buffer_store_dword v99, off, s[36:39], 0 offset:60 ; 4-byte Folded Spill
	s_nop 0
	buffer_store_dword v100, off, s[36:39], 0 offset:64 ; 4-byte Folded Spill
	buffer_store_dword v101, off, s[36:39], 0 offset:68 ; 4-byte Folded Spill
	;; [unrolled: 1-line block ×3, first 2 shown]
	v_fma_f64 v[16:17], v[52:53], v[103:104], v[16:17]
	v_fma_f64 v[20:21], v[56:57], v[130:131], v[20:21]
	v_mov_b32_e32 v1, s0
	v_add_co_u32_e32 v0, vcc, s1, v79
	v_addc_co_u32_e32 v1, vcc, v80, v1, vcc
	v_fma_f64 v[6:7], v[34:35], v[122:123], -v[18:19]
	v_mul_f64 v[18:19], v[52:53], v[105:106]
	buffer_store_dword v103, off, s[36:39], 0 offset:92 ; 4-byte Folded Spill
	s_nop 0
	buffer_store_dword v104, off, s[36:39], 0 offset:96 ; 4-byte Folded Spill
	buffer_store_dword v105, off, s[36:39], 0 offset:100 ; 4-byte Folded Spill
	;; [unrolled: 1-line block ×3, first 2 shown]
	v_fma_f64 v[10:11], v[38:39], v[107:108], -v[22:23]
	v_mul_f64 v[22:23], v[56:57], v[132:133]
	buffer_store_dword v130, off, s[36:39], 0 offset:188 ; 4-byte Folded Spill
	s_nop 0
	buffer_store_dword v131, off, s[36:39], 0 offset:192 ; 4-byte Folded Spill
	buffer_store_dword v132, off, s[36:39], 0 offset:196 ; 4-byte Folded Spill
	;; [unrolled: 1-line block ×4, first 2 shown]
	s_nop 0
	buffer_store_dword v135, off, s[36:39], 0 offset:208 ; 4-byte Folded Spill
	buffer_store_dword v136, off, s[36:39], 0 offset:212 ; 4-byte Folded Spill
	;; [unrolled: 1-line block ×3, first 2 shown]
	global_load_dwordx4 v[170:173], v[70:71], off offset:2880
	global_load_dwordx4 v[28:31], v[0:1], off
	global_load_dwordx4 v[182:185], v192, s[6:7] offset:3584
	v_add_co_u32_e32 v0, vcc, s16, v0
	v_addc_co_u32_e32 v1, vcc, v1, v78, vcc
	global_load_dwordx4 v[32:35], v[0:1], off
	v_add_co_u32_e32 v0, vcc, s16, v0
	v_addc_co_u32_e32 v1, vcc, v1, v78, vcc
	global_load_dwordx4 v[36:39], v[0:1], off
	v_add_co_u32_e32 v0, vcc, s16, v0
	v_addc_co_u32_e32 v1, vcc, v1, v78, vcc
	v_fma_f64 v[14:15], v[46:47], v[99:100], -v[2:3]
	global_load_dwordx4 v[44:47], v[0:1], off
	v_mov_b32_e32 v2, s0
	v_add_co_u32_e32 v0, vcc, s1, v0
	v_addc_co_u32_e32 v1, vcc, v1, v2, vcc
	v_mul_f64 v[107:108], v[42:43], v[148:149]
	v_fma_f64 v[40:41], v[40:41], v[146:147], v[107:108]
	v_fma_f64 v[18:19], v[54:55], v[103:104], -v[18:19]
	global_load_dwordx4 v[52:55], v[0:1], off
	v_add_co_u32_e32 v0, vcc, s16, v0
	v_addc_co_u32_e32 v1, vcc, v1, v78, vcc
	v_fma_f64 v[22:23], v[58:59], v[130:131], -v[22:23]
	global_load_dwordx4 v[56:59], v[0:1], off
	global_load_dwordx4 v[162:165], v[64:65], off offset:32
	v_add_co_u32_e32 v0, vcc, s16, v0
	v_addc_co_u32_e32 v1, vcc, v1, v78, vcc
	v_fma_f64 v[26:27], v[62:63], v[134:135], -v[26:27]
	global_load_dwordx4 v[60:63], v[0:1], off
	global_load_dwordx4 v[158:161], v[70:71], off offset:3776
	v_add_co_u32_e32 v0, vcc, s16, v0
	v_addc_co_u32_e32 v1, vcc, v1, v78, vcc
	global_load_dwordx4 v[174:177], v[74:75], off offset:2528
	global_load_dwordx4 v[70:73], v[0:1], off
	global_load_dwordx4 v[154:157], v[74:75], off offset:3424
	v_add_co_u32_e32 v0, vcc, s1, v0
	v_addc_co_u32_e32 v1, vcc, v1, v2, vcc
	global_load_dwordx4 v[79:82], v[0:1], off
	global_load_dwordx4 v[166:169], v[68:69], off offset:384
	global_load_dwordx4 v[150:153], v[68:69], off offset:1280
	v_add_co_u32_e32 v0, vcc, s16, v0
	v_addc_co_u32_e32 v1, vcc, v1, v78, vcc
	global_load_dwordx4 v[83:86], v[0:1], off
	global_load_dwordx4 v[138:141], v[64:65], off offset:928
	v_add_co_u32_e32 v0, vcc, s16, v0
	v_addc_co_u32_e32 v1, vcc, v1, v78, vcc
	v_add_co_u32_e32 v2, vcc, s16, v0
	v_addc_co_u32_e32 v3, vcc, v1, v78, vcc
	global_load_dwordx4 v[87:90], v[0:1], off
	global_load_dwordx4 v[130:133], v[66:67], off offset:576
	v_add_co_u32_e32 v0, vcc, s8, v97
	v_addc_co_u32_e32 v1, vcc, 0, v98, vcc
	global_load_dwordx4 v[91:94], v[2:3], off
	v_mov_b32_e32 v68, s0
	v_add_co_u32_e32 v2, vcc, s1, v2
	v_addc_co_u32_e32 v3, vcc, v3, v68, vcc
	buffer_store_dword v97, off, s[36:39], 0 offset:1668 ; 4-byte Folded Spill
	buffer_store_dword v98, off, s[36:39], 0 offset:1672 ; 4-byte Folded Spill
	global_load_dwordx4 v[95:98], v[2:3], off
	v_add_co_u32_e32 v2, vcc, s16, v2
	v_addc_co_u32_e32 v3, vcc, v3, v78, vcc
	global_load_dwordx4 v[99:102], v[2:3], off
	v_add_co_u32_e32 v2, vcc, s16, v2
	v_addc_co_u32_e32 v3, vcc, v3, v78, vcc
	global_load_dwordx4 v[126:129], v[0:1], off offset:224
	global_load_dwordx4 v[103:106], v[2:3], off
	global_load_dwordx4 v[122:125], v[66:67], off offset:1472
	s_nop 0
	buffer_store_dword v146, off, s[36:39], 0 offset:252 ; 4-byte Folded Spill
	s_nop 0
	buffer_store_dword v147, off, s[36:39], 0 offset:256 ; 4-byte Folded Spill
	buffer_store_dword v148, off, s[36:39], 0 offset:260 ; 4-byte Folded Spill
	;; [unrolled: 1-line block ×3, first 2 shown]
	v_add_co_u32_e32 v2, vcc, s16, v2
	v_addc_co_u32_e32 v3, vcc, v3, v78, vcc
	v_mul_f64 v[68:69], v[48:49], v[144:145]
	v_fma_f64 v[48:49], v[48:49], v[142:143], v[111:112]
	v_or_b32_e32 v112, 0x1c0, v193
	s_mov_b64 s[0:1], 0x1ea
	v_cmp_gt_u64_e32 vcc, s[0:1], v[112:113]
	v_fma_f64 v[42:43], v[42:43], v[146:147], -v[109:110]
	global_load_dwordx4 v[107:110], v[2:3], off
	s_nop 0
	buffer_store_dword v142, off, s[36:39], 0 offset:236 ; 4-byte Folded Spill
	s_nop 0
	buffer_store_dword v143, off, s[36:39], 0 offset:240 ; 4-byte Folded Spill
	buffer_store_dword v144, off, s[36:39], 0 offset:244 ; 4-byte Folded Spill
	;; [unrolled: 1-line block ×3, first 2 shown]
	global_load_dwordx4 v[134:137], v[0:1], off offset:1120
	s_load_dwordx2 s[14:15], s[4:5], 0x38
	s_load_dwordx4 s[8:11], s[2:3], 0x0
	v_fma_f64 v[50:51], v[50:51], v[142:143], -v[68:69]
	ds_write_b128 v192, v[4:7] offset:1792
	ds_write_b128 v192, v[8:11] offset:9632
	;; [unrolled: 1-line block ×8, first 2 shown]
	s_waitcnt vmcnt(36)
	v_mul_f64 v[4:5], v[30:31], v[184:185]
	s_waitcnt vmcnt(35)
	v_mul_f64 v[8:9], v[34:35], v[180:181]
	v_mul_f64 v[6:7], v[28:29], v[184:185]
	;; [unrolled: 1-line block ×3, first 2 shown]
	s_waitcnt vmcnt(34)
	v_mul_f64 v[12:13], v[38:39], v[172:173]
	s_waitcnt vmcnt(27)
	v_mul_f64 v[16:17], v[46:47], v[176:177]
	;; [unrolled: 2-line block ×3, first 2 shown]
	v_mul_f64 v[24:25], v[58:59], v[164:165]
	v_fma_f64 v[4:5], v[28:29], v[182:183], v[4:5]
	buffer_store_dword v182, off, s[36:39], 0 offset:540 ; 4-byte Folded Spill
	s_nop 0
	buffer_store_dword v183, off, s[36:39], 0 offset:544 ; 4-byte Folded Spill
	buffer_store_dword v184, off, s[36:39], 0 offset:548 ; 4-byte Folded Spill
	;; [unrolled: 1-line block ×3, first 2 shown]
	v_fma_f64 v[8:9], v[32:33], v[178:179], v[8:9]
	buffer_store_dword v178, off, s[36:39], 0 offset:524 ; 4-byte Folded Spill
	s_nop 0
	buffer_store_dword v179, off, s[36:39], 0 offset:528 ; 4-byte Folded Spill
	buffer_store_dword v180, off, s[36:39], 0 offset:532 ; 4-byte Folded Spill
	;; [unrolled: 1-line block ×3, first 2 shown]
	v_mul_f64 v[28:29], v[62:63], v[160:161]
	v_mul_f64 v[32:33], v[72:73], v[156:157]
	;; [unrolled: 1-line block ×3, first 2 shown]
	v_fma_f64 v[12:13], v[36:37], v[170:171], v[12:13]
	buffer_store_dword v170, off, s[36:39], 0 offset:492 ; 4-byte Folded Spill
	s_nop 0
	buffer_store_dword v171, off, s[36:39], 0 offset:496 ; 4-byte Folded Spill
	buffer_store_dword v172, off, s[36:39], 0 offset:500 ; 4-byte Folded Spill
	buffer_store_dword v173, off, s[36:39], 0 offset:504 ; 4-byte Folded Spill
	v_mul_f64 v[18:19], v[44:45], v[176:177]
	v_fma_f64 v[16:17], v[44:45], v[174:175], v[16:17]
	buffer_store_dword v174, off, s[36:39], 0 offset:508 ; 4-byte Folded Spill
	s_nop 0
	buffer_store_dword v175, off, s[36:39], 0 offset:512 ; 4-byte Folded Spill
	buffer_store_dword v176, off, s[36:39], 0 offset:516 ; 4-byte Folded Spill
	buffer_store_dword v177, off, s[36:39], 0 offset:520 ; 4-byte Folded Spill
	v_mul_f64 v[22:23], v[52:53], v[168:169]
	;; [unrolled: 7-line block ×3, first 2 shown]
	v_fma_f64 v[24:25], v[56:57], v[162:163], v[24:25]
	buffer_store_dword v162, off, s[36:39], 0 offset:460 ; 4-byte Folded Spill
	s_nop 0
	buffer_store_dword v163, off, s[36:39], 0 offset:464 ; 4-byte Folded Spill
	buffer_store_dword v164, off, s[36:39], 0 offset:468 ; 4-byte Folded Spill
	;; [unrolled: 1-line block ×3, first 2 shown]
	v_fma_f64 v[28:29], v[60:61], v[158:159], v[28:29]
	v_fma_f64 v[32:33], v[70:71], v[154:155], v[32:33]
	v_fma_f64 v[6:7], v[30:31], v[182:183], -v[6:7]
	v_mul_f64 v[30:31], v[60:61], v[160:161]
	buffer_store_dword v158, off, s[36:39], 0 offset:444 ; 4-byte Folded Spill
	s_nop 0
	buffer_store_dword v159, off, s[36:39], 0 offset:448 ; 4-byte Folded Spill
	buffer_store_dword v160, off, s[36:39], 0 offset:452 ; 4-byte Folded Spill
	;; [unrolled: 1-line block ×3, first 2 shown]
	v_fma_f64 v[10:11], v[34:35], v[178:179], -v[10:11]
	v_mul_f64 v[34:35], v[70:71], v[156:157]
	buffer_store_dword v154, off, s[36:39], 0 offset:428 ; 4-byte Folded Spill
	s_nop 0
	buffer_store_dword v155, off, s[36:39], 0 offset:432 ; 4-byte Folded Spill
	buffer_store_dword v156, off, s[36:39], 0 offset:436 ; 4-byte Folded Spill
	;; [unrolled: 1-line block ×3, first 2 shown]
	v_fma_f64 v[14:15], v[38:39], v[170:171], -v[14:15]
	v_fma_f64 v[18:19], v[46:47], v[174:175], -v[18:19]
	;; [unrolled: 1-line block ×6, first 2 shown]
	ds_write_b128 v192, v[4:7] offset:3584
	ds_write_b128 v192, v[8:11] offset:11424
	;; [unrolled: 1-line block ×8, first 2 shown]
	s_waitcnt vmcnt(54)
	v_mul_f64 v[4:5], v[81:82], v[152:153]
	s_waitcnt vmcnt(52)
	v_mul_f64 v[8:9], v[85:86], v[140:141]
	s_waitcnt vmcnt(50)
	v_mul_f64 v[12:13], v[89:90], v[132:133]
	s_waitcnt vmcnt(44)
	v_mul_f64 v[16:17], v[93:94], v[128:129]
	v_mul_f64 v[20:21], v[97:98], v[120:121]
	v_mul_f64 v[24:25], v[101:102], v[116:117]
	s_waitcnt vmcnt(42)
	v_mul_f64 v[28:29], v[105:106], v[124:125]
	s_waitcnt vmcnt(32)
	v_mul_f64 v[32:33], v[109:110], v[136:137]
	v_mul_f64 v[6:7], v[79:80], v[152:153]
	v_fma_f64 v[4:5], v[79:80], v[150:151], v[4:5]
	buffer_store_dword v150, off, s[36:39], 0 offset:412 ; 4-byte Folded Spill
	s_nop 0
	buffer_store_dword v151, off, s[36:39], 0 offset:416 ; 4-byte Folded Spill
	buffer_store_dword v152, off, s[36:39], 0 offset:420 ; 4-byte Folded Spill
	buffer_store_dword v153, off, s[36:39], 0 offset:424 ; 4-byte Folded Spill
	v_mul_f64 v[10:11], v[83:84], v[140:141]
	v_fma_f64 v[8:9], v[83:84], v[138:139], v[8:9]
	buffer_store_dword v138, off, s[36:39], 0 offset:396 ; 4-byte Folded Spill
	s_nop 0
	buffer_store_dword v139, off, s[36:39], 0 offset:400 ; 4-byte Folded Spill
	buffer_store_dword v140, off, s[36:39], 0 offset:404 ; 4-byte Folded Spill
	buffer_store_dword v141, off, s[36:39], 0 offset:408 ; 4-byte Folded Spill
	;; [unrolled: 7-line block ×8, first 2 shown]
	v_fma_f64 v[6:7], v[81:82], v[150:151], -v[6:7]
	v_fma_f64 v[10:11], v[85:86], v[138:139], -v[10:11]
	;; [unrolled: 1-line block ×8, first 2 shown]
	ds_write_b128 v192, v[4:7] offset:5376
	ds_write_b128 v192, v[8:11] offset:13216
	;; [unrolled: 1-line block ×8, first 2 shown]
	v_mov_b32_e32 v4, v112
	buffer_store_dword v4, off, s[36:39], 0 ; 4-byte Folded Spill
	s_nop 0
	buffer_store_dword v5, off, s[36:39], 0 offset:4 ; 4-byte Folded Spill
	v_lshlrev_b32_e32 v4, 4, v112
	buffer_store_dword v4, off, s[36:39], 0 offset:32 ; 4-byte Folded Spill
	s_and_saveexec_b64 s[2:3], vcc
	s_cbranch_execz .LBB0_3
; %bb.2:
	buffer_load_dword v4, off, s[36:39], 0  ; 4-byte Folded Reload
	buffer_load_dword v5, off, s[36:39], 0 offset:4 ; 4-byte Folded Reload
	v_mov_b32_e32 v24, s17
	s_waitcnt vmcnt(1)
	v_mov_b32_e32 v6, v4
	s_waitcnt vmcnt(0)
	v_mad_u64_u32 v[4:5], s[0:1], s12, v6, 0
	v_mad_u64_u32 v[5:6], s[0:1], s13, v6, v[5:6]
	v_mov_b32_e32 v6, 0xffffc640
	v_mad_u64_u32 v[10:11], s[0:1], s12, v6, v[2:3]
	v_lshlrev_b64 v[2:3], 4, v[4:5]
	v_add_co_u32_e64 v30, s[0:1], v76, v2
	buffer_load_dword v2, off, s[36:39], 0 offset:32 ; 4-byte Folded Reload
	v_addc_co_u32_e64 v31, s[0:1], v77, v3, s[0:1]
	s_mul_i32 s0, s13, 0xffffc640
	s_sub_i32 s0, s0, s12
	v_add_u32_e32 v11, s0, v11
	v_add_co_u32_e64 v22, s[0:1], s16, v10
	v_addc_co_u32_e64 v23, s[0:1], v11, v24, s[0:1]
	global_load_dwordx4 v[6:9], v[10:11], off
	s_waitcnt vmcnt(1)
	global_load_dwordx4 v[2:5], v2, s[6:7]
	s_nop 0
	global_load_dwordx4 v[10:13], v[22:23], off
	global_load_dwordx4 v[14:17], v[64:65], off offset:2720
	global_load_dwordx4 v[18:21], v[66:67], off offset:2368
	v_add_co_u32_e64 v22, s[0:1], s16, v22
	v_addc_co_u32_e64 v23, s[0:1], v23, v24, s[0:1]
	global_load_dwordx4 v[22:25], v[22:23], off
	s_nop 0
	global_load_dwordx4 v[26:29], v[0:1], off offset:2016
	s_nop 0
	global_load_dwordx4 v[30:33], v[30:31], off
	s_waitcnt vmcnt(4)
	v_mul_f64 v[0:1], v[8:9], v[16:17]
	v_mul_f64 v[16:17], v[6:7], v[16:17]
	s_waitcnt vmcnt(3)
	v_mul_f64 v[34:35], v[12:13], v[20:21]
	v_mul_f64 v[20:21], v[10:11], v[20:21]
	s_waitcnt vmcnt(1)
	v_mul_f64 v[36:37], v[24:25], v[28:29]
	s_waitcnt vmcnt(0)
	v_mul_f64 v[38:39], v[32:33], v[4:5]
	v_mul_f64 v[40:41], v[30:31], v[4:5]
	;; [unrolled: 1-line block ×3, first 2 shown]
	v_fma_f64 v[4:5], v[6:7], v[14:15], v[0:1]
	v_fma_f64 v[6:7], v[8:9], v[14:15], -v[16:17]
	v_fma_f64 v[8:9], v[10:11], v[18:19], v[34:35]
	v_fma_f64 v[10:11], v[12:13], v[18:19], -v[20:21]
	v_fma_f64 v[0:1], v[22:23], v[26:27], v[36:37]
	v_fma_f64 v[12:13], v[30:31], v[2:3], v[38:39]
	v_fma_f64 v[14:15], v[32:33], v[2:3], -v[40:41]
	v_fma_f64 v[2:3], v[24:25], v[26:27], -v[28:29]
	ds_write_b128 v192, v[4:7] offset:15008
	ds_write_b128 v192, v[8:11] offset:22848
	ds_write_b128 v192, v[12:15] offset:7168
	ds_write_b128 v192, v[0:3] offset:30688
.LBB0_3:
	s_or_b64 exec, exec, s[2:3]
	s_waitcnt lgkmcnt(0)
	; wave barrier
	s_waitcnt lgkmcnt(0)
	ds_read_b128 v[128:131], v192
	ds_read_b128 v[112:115], v192 offset:896
	ds_read_b128 v[132:135], v192 offset:7840
	;; [unrolled: 1-line block ×31, first 2 shown]
	s_load_dwordx2 s[4:5], s[4:5], 0x8
                                        ; implicit-def: $vgpr4_vgpr5
                                        ; implicit-def: $vgpr20_vgpr21
                                        ; implicit-def: $vgpr16_vgpr17
                                        ; implicit-def: $vgpr8_vgpr9
	s_and_saveexec_b64 s[0:1], vcc
	s_cbranch_execz .LBB0_5
; %bb.4:
	ds_read_b128 v[4:7], v192 offset:7168
	ds_read_b128 v[8:11], v192 offset:15008
	;; [unrolled: 1-line block ×4, first 2 shown]
.LBB0_5:
	s_or_b64 exec, exec, s[0:1]
	s_waitcnt lgkmcnt(0)
	v_add_f64 v[140:141], v[128:129], -v[140:141]
	v_add_f64 v[142:143], v[130:131], -v[142:143]
	;; [unrolled: 1-line block ×8, first 2 shown]
	v_fma_f64 v[128:129], v[128:129], 2.0, -v[140:141]
	v_fma_f64 v[130:131], v[130:131], 2.0, -v[142:143]
	;; [unrolled: 1-line block ×4, first 2 shown]
	v_add_f64 v[152:153], v[0:1], -v[28:29]
	v_add_f64 v[154:155], v[2:3], -v[30:31]
	v_fma_f64 v[124:125], v[116:117], 2.0, -v[148:149]
	v_fma_f64 v[126:127], v[118:119], 2.0, -v[150:151]
	v_add_f64 v[116:117], v[140:141], -v[138:139]
	v_add_f64 v[118:119], v[142:143], v[136:137]
	v_add_f64 v[120:121], v[128:129], -v[132:133]
	v_add_f64 v[122:123], v[130:131], -v[134:135]
	v_fma_f64 v[132:133], v[112:113], 2.0, -v[144:145]
	v_fma_f64 v[134:135], v[114:115], 2.0, -v[146:147]
	v_add_f64 v[136:137], v[100:101], -v[104:105]
	v_add_f64 v[138:139], v[102:103], -v[106:107]
	v_fma_f64 v[104:105], v[140:141], 2.0, -v[116:117]
	v_fma_f64 v[106:107], v[142:143], 2.0, -v[118:119]
	;; [unrolled: 1-line block ×4, first 2 shown]
	v_add_f64 v[124:125], v[132:133], -v[124:125]
	v_add_f64 v[126:127], v[134:135], -v[126:127]
	;; [unrolled: 1-line block ×4, first 2 shown]
	v_fma_f64 v[100:101], v[100:101], 2.0, -v[136:137]
	v_fma_f64 v[102:103], v[102:103], 2.0, -v[138:139]
	v_add_f64 v[140:141], v[84:85], -v[88:89]
	v_add_f64 v[142:143], v[86:87], -v[90:91]
	v_fma_f64 v[108:109], v[132:133], 2.0, -v[124:125]
	v_fma_f64 v[110:111], v[134:135], 2.0, -v[126:127]
	;; [unrolled: 1-line block ×4, first 2 shown]
	v_add_f64 v[132:133], v[80:81], -v[92:93]
	v_add_f64 v[134:135], v[82:83], -v[94:95]
	;; [unrolled: 1-line block ×3, first 2 shown]
	v_add_f64 v[90:91], v[146:147], v[148:149]
	v_fma_f64 v[0:1], v[0:1], 2.0, -v[152:153]
	v_fma_f64 v[2:3], v[2:3], 2.0, -v[154:155]
	v_add_f64 v[92:93], v[96:97], -v[100:101]
	v_add_f64 v[94:95], v[98:99], -v[102:103]
	v_fma_f64 v[148:149], v[80:81], 2.0, -v[132:133]
	v_fma_f64 v[150:151], v[82:83], 2.0, -v[134:135]
	;; [unrolled: 1-line block ×8, first 2 shown]
	v_add_f64 v[96:97], v[128:129], -v[138:139]
	v_add_f64 v[98:99], v[130:131], v[136:137]
	v_add_f64 v[100:101], v[148:149], -v[100:101]
	v_add_f64 v[102:103], v[150:151], -v[102:103]
	;; [unrolled: 1-line block ×6, first 2 shown]
	v_fma_f64 v[72:73], v[128:129], 2.0, -v[96:97]
	v_fma_f64 v[74:75], v[130:131], 2.0, -v[98:99]
	;; [unrolled: 1-line block ×8, first 2 shown]
	v_add_f64 v[128:129], v[48:49], -v[60:61]
	v_add_f64 v[130:131], v[50:51], -v[62:63]
	;; [unrolled: 1-line block ×5, first 2 shown]
	v_add_f64 v[58:59], v[134:135], v[140:141]
	v_add_f64 v[60:61], v[64:65], -v[68:69]
	v_add_f64 v[62:63], v[66:67], -v[70:71]
	v_fma_f64 v[140:141], v[48:49], 2.0, -v[128:129]
	v_fma_f64 v[142:143], v[50:51], 2.0, -v[130:131]
	;; [unrolled: 1-line block ×8, first 2 shown]
	v_add_f64 v[64:65], v[136:137], -v[146:147]
	v_add_f64 v[66:67], v[138:139], v[144:145]
	v_add_f64 v[68:69], v[140:141], -v[68:69]
	v_add_f64 v[70:71], v[142:143], -v[70:71]
	v_add_f64 v[144:145], v[32:33], -v[44:45]
	v_add_f64 v[146:147], v[34:35], -v[46:47]
	v_add_f64 v[132:133], v[36:37], -v[40:41]
	v_add_f64 v[134:135], v[38:39], -v[42:43]
	v_fma_f64 v[40:41], v[136:137], 2.0, -v[64:65]
	v_fma_f64 v[42:43], v[138:139], 2.0, -v[66:67]
	;; [unrolled: 1-line block ×4, first 2 shown]
	v_add_f64 v[140:141], v[12:13], -v[24:25]
	v_add_f64 v[142:143], v[14:15], -v[26:27]
	v_fma_f64 v[136:137], v[32:33], 2.0, -v[144:145]
	v_fma_f64 v[138:139], v[34:35], 2.0, -v[146:147]
	;; [unrolled: 1-line block ×4, first 2 shown]
	v_add_f64 v[24:25], v[128:129], -v[150:151]
	v_add_f64 v[26:27], v[130:131], v[148:149]
	v_fma_f64 v[12:13], v[12:13], 2.0, -v[140:141]
	v_fma_f64 v[14:15], v[14:15], 2.0, -v[142:143]
	v_add_co_u32_e64 v176, s[0:1], 56, v193
	v_add_f64 v[28:29], v[136:137], -v[32:33]
	v_add_f64 v[30:31], v[138:139], -v[34:35]
	v_fma_f64 v[32:33], v[128:129], 2.0, -v[24:25]
	v_fma_f64 v[34:35], v[130:131], 2.0, -v[26:27]
	v_add_f64 v[128:129], v[144:145], -v[134:135]
	v_add_f64 v[130:131], v[146:147], v[132:133]
	v_add_f64 v[132:133], v[0:1], -v[12:13]
	v_add_f64 v[134:135], v[2:3], -v[14:15]
	v_fma_f64 v[36:37], v[136:137], 2.0, -v[28:29]
	v_fma_f64 v[38:39], v[138:139], 2.0, -v[30:31]
	v_add_f64 v[136:137], v[152:153], -v[142:143]
	v_add_f64 v[138:139], v[154:155], v[140:141]
	s_movk_i32 s0, 0x70
	v_add_co_u32_e64 v172, s[0:1], s0, v193
	s_movk_i32 s0, 0xa8
	v_add_co_u32_e64 v171, s[0:1], s0, v193
	s_movk_i32 s0, 0xe0
	v_add_co_u32_e64 v170, s[0:1], s0, v193
	v_add_f64 v[12:13], v[4:5], -v[16:17]
	v_add_f64 v[14:15], v[6:7], -v[18:19]
	;; [unrolled: 1-line block ×4, first 2 shown]
	v_fma_f64 v[20:21], v[144:145], 2.0, -v[128:129]
	v_fma_f64 v[22:23], v[146:147], 2.0, -v[130:131]
	;; [unrolled: 1-line block ×4, first 2 shown]
	v_lshlrev_b32_e32 v148, 6, v193
	s_movk_i32 s0, 0x118
	v_fma_f64 v[144:145], v[152:153], 2.0, -v[136:137]
	v_fma_f64 v[146:147], v[154:155], 2.0, -v[138:139]
	s_waitcnt lgkmcnt(0)
	; wave barrier
	ds_write_b128 v148, v[112:115]
	ds_write_b128 v148, v[104:107] offset:16
	ds_write_b128 v148, v[120:123] offset:32
	;; [unrolled: 1-line block ×3, first 2 shown]
	v_lshlrev_b32_e32 v104, 6, v176
	v_add_co_u32_e64 v174, s[0:1], s0, v193
	ds_write_b128 v104, v[108:111]
	ds_write_b128 v104, v[80:83] offset:16
	ds_write_b128 v104, v[124:127] offset:32
	v_lshlrev_b32_e32 v80, 6, v172
	s_movk_i32 s0, 0x150
	buffer_store_dword v104, off, s[36:39], 0 offset:560 ; 4-byte Folded Spill
	ds_write_b128 v104, v[88:91] offset:48
	ds_write_b128 v80, v[84:87]
	ds_write_b128 v80, v[72:75] offset:16
	ds_write_b128 v80, v[92:95] offset:32
	v_lshlrev_b32_e32 v72, 6, v171
	v_add_co_u32_e64 v175, s[0:1], s0, v193
	buffer_store_dword v80, off, s[36:39], 0 offset:564 ; 4-byte Folded Spill
	ds_write_b128 v80, v[96:99] offset:48
	ds_write_b128 v72, v[76:79]
	ds_write_b128 v72, v[48:51] offset:16
	ds_write_b128 v72, v[100:103] offset:32
	v_lshlrev_b32_e32 v48, 6, v170
	s_movk_i32 s0, 0x188
	buffer_store_dword v72, off, s[36:39], 0 offset:568 ; 4-byte Folded Spill
	ds_write_b128 v72, v[56:59] offset:48
	ds_write_b128 v48, v[52:55]
	ds_write_b128 v48, v[40:43] offset:16
	ds_write_b128 v48, v[60:63] offset:32
	v_lshlrev_b32_e32 v40, 6, v174
	v_add_co_u32_e64 v173, s[0:1], s0, v193
	buffer_store_dword v48, off, s[36:39], 0 offset:8 ; 4-byte Folded Spill
	ds_write_b128 v48, v[64:67] offset:48
	ds_write_b128 v40, v[44:47]
	ds_write_b128 v40, v[32:35] offset:16
	ds_write_b128 v40, v[68:71] offset:32
	;; [unrolled: 1-line block ×3, first 2 shown]
	v_lshlrev_b32_e32 v24, 6, v175
	buffer_store_dword v40, off, s[36:39], 0 offset:572 ; 4-byte Folded Spill
	ds_write_b128 v24, v[36:39]
	ds_write_b128 v24, v[20:23] offset:16
	ds_write_b128 v24, v[28:31] offset:32
	v_lshlrev_b32_e32 v20, 6, v173
	buffer_store_dword v24, off, s[36:39], 0 offset:12 ; 4-byte Folded Spill
	ds_write_b128 v24, v[128:131] offset:48
	ds_write_b128 v20, v[140:143]
	ds_write_b128 v20, v[144:147] offset:16
	ds_write_b128 v20, v[132:135] offset:32
	buffer_store_dword v20, off, s[36:39], 0 offset:576 ; 4-byte Folded Spill
	ds_write_b128 v20, v[136:139] offset:48
	buffer_load_dword v20, off, s[36:39], 0 ; 4-byte Folded Reload
	buffer_load_dword v21, off, s[36:39], 0 offset:4 ; 4-byte Folded Reload
	v_add_f64 v[0:1], v[12:13], -v[18:19]
	v_add_f64 v[2:3], v[14:15], v[16:17]
	s_waitcnt vmcnt(1)
	v_lshlrev_b32_e32 v20, 6, v20
	buffer_store_dword v20, off, s[36:39], 0 offset:556 ; 4-byte Folded Spill
	s_and_saveexec_b64 s[0:1], vcc
	s_cbranch_execz .LBB0_7
; %bb.6:
	s_waitcnt vmcnt(1)
	v_fma_f64 v[20:21], v[6:7], 2.0, -v[14:15]
	v_fma_f64 v[6:7], v[10:11], 2.0, -v[18:19]
	;; [unrolled: 1-line block ×4, first 2 shown]
	buffer_load_dword v16, off, s[36:39], 0 offset:556 ; 4-byte Folded Reload
	v_fma_f64 v[10:11], v[14:15], 2.0, -v[2:3]
	v_fma_f64 v[8:9], v[12:13], 2.0, -v[0:1]
	v_add_f64 v[6:7], v[20:21], -v[6:7]
	v_add_f64 v[4:5], v[18:19], -v[4:5]
	v_fma_f64 v[14:15], v[20:21], 2.0, -v[6:7]
	v_fma_f64 v[12:13], v[18:19], 2.0, -v[4:5]
	s_waitcnt vmcnt(0)
	ds_write_b128 v16, v[8:11] offset:16
	ds_write_b128 v16, v[4:7] offset:32
	ds_write_b128 v16, v[12:15]
	ds_write_b128 v16, v[0:3] offset:48
.LBB0_7:
	s_or_b64 exec, exec, s[0:1]
	v_lshlrev_b32_e32 v4, 2, v172
	v_and_b32_e32 v160, 3, v193
	buffer_store_dword v4, off, s[36:39], 0 offset:1364 ; 4-byte Folded Spill
	v_lshlrev_b32_e32 v4, 2, v171
	v_mul_u32_u24_e32 v128, 6, v160
	buffer_store_dword v4, off, s[36:39], 0 offset:1428 ; 4-byte Folded Spill
	v_lshlrev_b32_e32 v4, 2, v174
	v_lshlrev_b32_e32 v169, 4, v128
	buffer_store_dword v4, off, s[36:39], 0 offset:1556 ; 4-byte Folded Spill
	s_waitcnt lgkmcnt(0)
	; wave barrier
	s_waitcnt vmcnt(4) lgkmcnt(0)
	ds_read_b128 v[20:23], v192
	ds_read_b128 v[136:139], v192 offset:4480
	ds_read_b128 v[148:151], v192 offset:8960
	;; [unrolled: 1-line block ×34, first 2 shown]
	global_load_dwordx4 v[128:131], v169, s[4:5] offset:48
	global_load_dwordx4 v[132:135], v169, s[4:5] offset:32
	;; [unrolled: 1-line block ×3, first 2 shown]
	global_load_dwordx4 v[144:147], v169, s[4:5]
	s_mov_b32 s2, 0x37e14327
	s_mov_b32 s0, 0x36b3c0b5
	;; [unrolled: 1-line block ×20, first 2 shown]
	v_lshlrev_b32_e32 v254, 2, v193
	v_lshlrev_b32_e32 v253, 2, v176
	s_waitcnt vmcnt(0) lgkmcnt(14)
	v_mul_f64 v[161:162], v[138:139], v[146:147]
	v_fma_f64 v[161:162], v[136:137], v[144:145], -v[161:162]
	v_mul_f64 v[136:137], v[136:137], v[146:147]
	v_fma_f64 v[163:164], v[138:139], v[144:145], v[136:137]
	v_mul_f64 v[136:137], v[150:151], v[142:143]
	v_fma_f64 v[165:166], v[148:149], v[140:141], -v[136:137]
	v_mul_f64 v[136:137], v[148:149], v[142:143]
	v_fma_f64 v[167:168], v[150:151], v[140:141], v[136:137]
	;; [unrolled: 4-line block ×4, first 2 shown]
	global_load_dwordx4 v[136:139], v169, s[4:5] offset:80
	global_load_dwordx4 v[148:151], v169, s[4:5] offset:64
	s_waitcnt lgkmcnt(0)
	; wave barrier
	s_waitcnt vmcnt(0) lgkmcnt(0)
	v_mul_f64 v[152:153], v[126:127], v[150:151]
	v_fma_f64 v[185:186], v[124:125], v[148:149], -v[152:153]
	v_mul_f64 v[124:125], v[124:125], v[150:151]
	v_fma_f64 v[187:188], v[126:127], v[148:149], v[124:125]
	v_mul_f64 v[124:125], v[122:123], v[138:139]
	v_fma_f64 v[189:190], v[120:121], v[136:137], -v[124:125]
	v_mul_f64 v[120:121], v[120:121], v[138:139]
	v_fma_f64 v[194:195], v[122:123], v[136:137], v[120:121]
	;; [unrolled: 4-line block ×15, first 2 shown]
	v_mul_f64 v[68:69], v[66:67], v[142:143]
	v_add_f64 v[70:71], v[210:211], -v[206:207]
	v_fma_f64 v[100:101], v[64:65], v[140:141], -v[68:69]
	v_mul_f64 v[64:65], v[64:65], v[142:143]
	v_add_f64 v[68:69], v[208:209], -v[204:205]
	v_fma_f64 v[102:103], v[66:67], v[140:141], v[64:65]
	v_mul_f64 v[64:65], v[62:63], v[134:135]
	v_add_f64 v[66:67], v[206:207], v[210:211]
	v_fma_f64 v[104:105], v[60:61], v[132:133], -v[64:65]
	v_mul_f64 v[60:61], v[60:61], v[134:135]
	v_fma_f64 v[106:107], v[62:63], v[132:133], v[60:61]
	v_mul_f64 v[60:61], v[58:59], v[130:131]
	v_fma_f64 v[108:109], v[56:57], v[128:129], -v[60:61]
	v_mul_f64 v[56:57], v[56:57], v[130:131]
	v_fma_f64 v[110:111], v[58:59], v[128:129], v[56:57]
	v_mul_f64 v[56:57], v[54:55], v[150:151]
	;; [unrolled: 4-line block ×5, first 2 shown]
	v_add_f64 v[46:47], v[183:184], -v[179:180]
	v_fma_f64 v[74:75], v[40:41], v[140:141], -v[44:45]
	v_mul_f64 v[40:41], v[40:41], v[142:143]
	v_add_f64 v[44:45], v[181:182], -v[177:178]
	v_fma_f64 v[78:79], v[42:43], v[140:141], v[40:41]
	v_mul_f64 v[40:41], v[38:39], v[134:135]
	v_add_f64 v[42:43], v[179:180], v[183:184]
	v_fma_f64 v[80:81], v[36:37], v[132:133], -v[40:41]
	v_mul_f64 v[36:37], v[36:37], v[134:135]
	v_add_f64 v[40:41], v[177:178], v[181:182]
	v_fma_f64 v[82:83], v[38:39], v[132:133], v[36:37]
	v_mul_f64 v[36:37], v[34:35], v[130:131]
	v_add_f64 v[38:39], v[167:168], -v[187:188]
	v_fma_f64 v[84:85], v[32:33], v[128:129], -v[36:37]
	v_mul_f64 v[32:33], v[32:33], v[130:131]
	v_add_f64 v[36:37], v[165:166], -v[185:186]
	v_add_f64 v[58:59], v[46:47], v[38:39]
	v_add_f64 v[62:63], v[46:47], -v[38:39]
	v_fma_f64 v[86:87], v[34:35], v[128:129], v[32:33]
	v_mul_f64 v[32:33], v[30:31], v[150:151]
	v_add_f64 v[34:35], v[167:168], v[187:188]
	v_add_f64 v[56:57], v[44:45], v[36:37]
	v_add_f64 v[60:61], v[44:45], -v[36:37]
	v_fma_f64 v[88:89], v[28:29], v[148:149], -v[32:33]
	v_mul_f64 v[28:29], v[28:29], v[150:151]
	v_add_f64 v[32:33], v[165:166], v[185:186]
	v_fma_f64 v[90:91], v[30:31], v[148:149], v[28:29]
	v_mul_f64 v[28:29], v[26:27], v[138:139]
	v_add_f64 v[30:31], v[163:164], -v[194:195]
	v_fma_f64 v[92:93], v[24:25], v[136:137], -v[28:29]
	v_mul_f64 v[24:25], v[24:25], v[138:139]
	v_add_f64 v[28:29], v[161:162], -v[189:190]
	v_add_f64 v[46:47], v[30:31], -v[46:47]
	;; [unrolled: 1-line block ×3, first 2 shown]
	v_add_f64 v[30:31], v[58:59], v[30:31]
	v_mul_f64 v[58:59], v[62:63], s[16:17]
	v_fma_f64 v[94:95], v[26:27], v[136:137], v[24:25]
	v_add_f64 v[24:25], v[161:162], v[189:190]
	v_add_f64 v[26:27], v[163:164], v[194:195]
	v_add_f64 v[44:45], v[28:29], -v[44:45]
	v_add_f64 v[36:37], v[36:37], -v[28:29]
	v_add_f64 v[28:29], v[56:57], v[28:29]
	v_mul_f64 v[56:57], v[60:61], s[16:17]
	v_mul_f64 v[62:63], v[38:39], s[12:13]
	v_fma_f64 v[38:39], v[38:39], s[12:13], -v[58:59]
	v_add_f64 v[48:49], v[32:33], v[24:25]
	v_add_f64 v[50:51], v[34:35], v[26:27]
	v_add_f64 v[52:53], v[32:33], -v[24:25]
	v_add_f64 v[54:55], v[34:35], -v[26:27]
	;; [unrolled: 1-line block ×6, first 2 shown]
	v_add_f64 v[40:41], v[40:41], v[48:49]
	v_add_f64 v[42:43], v[42:43], v[50:51]
	v_mul_f64 v[60:61], v[36:37], s[12:13]
	v_fma_f64 v[36:37], v[36:37], s[12:13], -v[56:57]
	v_mul_f64 v[24:25], v[24:25], s[2:3]
	v_mul_f64 v[26:27], v[26:27], s[2:3]
	;; [unrolled: 1-line block ×4, first 2 shown]
	v_add_f64 v[20:21], v[20:21], v[40:41]
	v_add_f64 v[22:23], v[22:23], v[42:43]
	v_fma_f64 v[38:39], v[30:31], s[22:23], v[38:39]
	v_fma_f64 v[36:37], v[28:29], s[22:23], v[36:37]
	;; [unrolled: 1-line block ×4, first 2 shown]
	v_fma_f64 v[48:49], v[52:53], s[20:21], -v[48:49]
	v_fma_f64 v[50:51], v[54:55], s[20:21], -v[50:51]
	v_fma_f64 v[40:41], v[40:41], s[18:19], v[20:21]
	v_fma_f64 v[42:43], v[42:43], s[18:19], v[22:23]
	v_fma_f64 v[24:25], v[52:53], s[24:25], -v[24:25]
	v_fma_f64 v[26:27], v[54:55], s[24:25], -v[26:27]
	v_fma_f64 v[52:53], v[44:45], s[26:27], v[56:57]
	v_fma_f64 v[54:55], v[46:47], s[26:27], v[58:59]
	v_fma_f64 v[44:45], v[44:45], s[28:29], -v[60:61]
	v_fma_f64 v[46:47], v[46:47], s[28:29], -v[62:63]
	v_add_f64 v[56:57], v[32:33], v[40:41]
	v_add_f64 v[58:59], v[34:35], v[42:43]
	;; [unrolled: 1-line block ×4, first 2 shown]
	v_fma_f64 v[52:53], v[28:29], s[22:23], v[52:53]
	v_fma_f64 v[54:55], v[30:31], s[22:23], v[54:55]
	v_add_f64 v[60:61], v[24:25], v[40:41]
	v_add_f64 v[62:63], v[26:27], v[42:43]
	v_fma_f64 v[64:65], v[28:29], s[22:23], v[44:45]
	v_fma_f64 v[44:45], v[30:31], s[22:23], v[46:47]
	v_add_f64 v[32:33], v[48:49], -v[38:39]
	v_add_f64 v[34:35], v[36:37], v[50:51]
	v_add_f64 v[26:27], v[58:59], -v[52:53]
	v_add_f64 v[24:25], v[54:55], v[56:57]
	v_add_f64 v[40:41], v[38:39], v[48:49]
	v_add_f64 v[42:43], v[50:51], -v[36:37]
	v_add_f64 v[36:37], v[56:57], -v[54:55]
	v_add_f64 v[38:39], v[52:53], v[58:59]
	v_add_f64 v[48:49], v[196:197], v[216:217]
	;; [unrolled: 1-line block ×6, first 2 shown]
	v_add_f64 v[30:31], v[62:63], -v[64:65]
	v_add_f64 v[44:45], v[60:61], -v[44:45]
	v_add_f64 v[46:47], v[64:65], v[62:63]
	v_add_f64 v[60:61], v[200:201], -v[212:213]
	v_add_f64 v[62:63], v[202:203], -v[214:215]
	v_add_f64 v[64:65], v[204:205], v[208:209]
	v_add_f64 v[161:162], v[56:57], v[48:49]
	;; [unrolled: 1-line block ×3, first 2 shown]
	v_add_f64 v[52:53], v[196:197], -v[216:217]
	v_add_f64 v[54:55], v[198:199], -v[218:219]
	;; [unrolled: 1-line block ×8, first 2 shown]
	v_add_f64 v[177:178], v[68:69], v[60:61]
	v_add_f64 v[179:180], v[70:71], v[62:63]
	v_add_f64 v[181:182], v[68:69], -v[60:61]
	v_add_f64 v[183:184], v[70:71], -v[62:63]
	v_add_f64 v[64:65], v[64:65], v[161:162]
	v_add_f64 v[66:67], v[66:67], v[163:164]
	v_add_f64 v[68:69], v[52:53], -v[68:69]
	v_add_f64 v[70:71], v[54:55], -v[70:71]
	;; [unrolled: 1-line block ×4, first 2 shown]
	v_add_f64 v[52:53], v[177:178], v[52:53]
	v_add_f64 v[54:55], v[179:180], v[54:55]
	;; [unrolled: 1-line block ×4, first 2 shown]
	v_mul_f64 v[48:49], v[48:49], s[2:3]
	v_mul_f64 v[50:51], v[50:51], s[2:3]
	v_mul_f64 v[161:162], v[56:57], s[0:1]
	v_mul_f64 v[163:164], v[58:59], s[0:1]
	v_mul_f64 v[177:178], v[181:182], s[16:17]
	v_mul_f64 v[179:180], v[183:184], s[16:17]
	v_mul_f64 v[181:182], v[60:61], s[12:13]
	v_mul_f64 v[183:184], v[62:63], s[12:13]
	v_fma_f64 v[64:65], v[64:65], s[18:19], v[16:17]
	v_fma_f64 v[66:67], v[66:67], s[18:19], v[18:19]
	;; [unrolled: 1-line block ×4, first 2 shown]
	v_fma_f64 v[161:162], v[165:166], s[20:21], -v[161:162]
	v_fma_f64 v[163:164], v[167:168], s[20:21], -v[163:164]
	;; [unrolled: 1-line block ×4, first 2 shown]
	v_fma_f64 v[165:166], v[68:69], s[26:27], v[177:178]
	v_fma_f64 v[167:168], v[70:71], s[26:27], v[179:180]
	v_fma_f64 v[60:61], v[60:61], s[12:13], -v[177:178]
	v_fma_f64 v[62:63], v[62:63], s[12:13], -v[179:180]
	v_add_f64 v[177:178], v[56:57], v[64:65]
	v_add_f64 v[179:180], v[58:59], v[66:67]
	v_add_f64 v[161:162], v[161:162], v[64:65]
	v_add_f64 v[163:164], v[163:164], v[66:67]
	v_fma_f64 v[165:166], v[52:53], s[22:23], v[165:166]
	v_fma_f64 v[167:168], v[54:55], s[22:23], v[167:168]
	;; [unrolled: 1-line block ×4, first 2 shown]
	v_fma_f64 v[68:69], v[68:69], s[28:29], -v[181:182]
	v_fma_f64 v[70:71], v[70:71], s[28:29], -v[183:184]
	v_add_f64 v[181:182], v[48:49], v[64:65]
	v_add_f64 v[183:184], v[50:51], v[66:67]
	v_add_f64 v[50:51], v[179:180], -v[165:166]
	v_add_f64 v[48:49], v[167:168], v[177:178]
	v_add_f64 v[58:59], v[60:61], v[163:164]
	v_add_f64 v[56:57], v[161:162], -v[62:63]
	v_add_f64 v[64:65], v[62:63], v[161:162]
	v_add_f64 v[66:67], v[163:164], -v[60:61]
	v_add_f64 v[60:61], v[177:178], -v[167:168]
	v_add_f64 v[62:63], v[165:166], v[179:180]
	v_add_f64 v[161:162], v[112:113], v[224:225]
	;; [unrolled: 1-line block ×5, first 2 shown]
	v_fma_f64 v[185:186], v[52:53], s[22:23], v[68:69]
	v_fma_f64 v[68:69], v[54:55], s[22:23], v[70:71]
	v_add_f64 v[112:113], v[112:113], -v[224:225]
	v_add_f64 v[122:123], v[122:123], -v[220:221]
	;; [unrolled: 1-line block ×3, first 2 shown]
	v_add_f64 v[177:178], v[152:153], v[156:157]
	v_add_f64 v[179:180], v[154:155], v[158:159]
	v_add_f64 v[152:153], v[156:157], -v[152:153]
	v_add_f64 v[154:155], v[158:159], -v[154:155]
	v_add_f64 v[156:157], v[165:166], v[161:162]
	v_add_f64 v[158:159], v[167:168], v[163:164]
	v_add_f64 v[52:53], v[68:69], v[181:182]
	v_add_f64 v[54:55], v[183:184], -v[185:186]
	v_add_f64 v[68:69], v[181:182], -v[68:69]
	v_add_f64 v[70:71], v[185:186], v[183:184]
	v_add_f64 v[124:125], v[124:125], -v[226:227]
	v_add_f64 v[181:182], v[165:166], -v[161:162]
	;; [unrolled: 1-line block ×7, first 2 shown]
	v_add_f64 v[185:186], v[152:153], v[122:123]
	v_add_f64 v[187:188], v[154:155], v[126:127]
	v_add_f64 v[189:190], v[152:153], -v[122:123]
	v_add_f64 v[194:195], v[154:155], -v[126:127]
	;; [unrolled: 1-line block ×3, first 2 shown]
	v_add_f64 v[156:157], v[177:178], v[156:157]
	v_add_f64 v[158:159], v[179:180], v[158:159]
	v_add_f64 v[152:153], v[112:113], -v[152:153]
	v_add_f64 v[154:155], v[124:125], -v[154:155]
	;; [unrolled: 1-line block ×3, first 2 shown]
	v_add_f64 v[112:113], v[185:186], v[112:113]
	v_add_f64 v[124:125], v[187:188], v[124:125]
	v_mul_f64 v[161:162], v[161:162], s[2:3]
	v_add_f64 v[12:13], v[12:13], v[156:157]
	v_add_f64 v[14:15], v[14:15], v[158:159]
	v_mul_f64 v[163:164], v[163:164], s[2:3]
	v_mul_f64 v[177:178], v[165:166], s[0:1]
	;; [unrolled: 1-line block ×7, first 2 shown]
	v_fma_f64 v[156:157], v[156:157], s[18:19], v[12:13]
	v_fma_f64 v[158:159], v[158:159], s[18:19], v[14:15]
	;; [unrolled: 1-line block ×4, first 2 shown]
	v_fma_f64 v[177:178], v[181:182], s[20:21], -v[177:178]
	v_fma_f64 v[179:180], v[183:184], s[20:21], -v[179:180]
	;; [unrolled: 1-line block ×4, first 2 shown]
	v_fma_f64 v[181:182], v[152:153], s[26:27], v[185:186]
	v_fma_f64 v[122:123], v[122:123], s[12:13], -v[185:186]
	v_fma_f64 v[126:127], v[126:127], s[12:13], -v[187:188]
	;; [unrolled: 1-line block ×3, first 2 shown]
	v_fma_f64 v[183:184], v[154:155], s[26:27], v[187:188]
	v_fma_f64 v[154:155], v[154:155], s[28:29], -v[194:195]
	v_add_f64 v[185:186], v[165:166], v[156:157]
	v_add_f64 v[187:188], v[167:168], v[158:159]
	;; [unrolled: 1-line block ×5, first 2 shown]
	v_fma_f64 v[181:182], v[112:113], s[22:23], v[181:182]
	v_fma_f64 v[163:164], v[112:113], s[22:23], v[122:123]
	;; [unrolled: 1-line block ×4, first 2 shown]
	v_add_f64 v[177:178], v[161:162], v[156:157]
	v_fma_f64 v[189:190], v[124:125], s[22:23], v[154:155]
	v_fma_f64 v[183:184], v[124:125], s[22:23], v[183:184]
	v_add_f64 v[124:125], v[187:188], -v[181:182]
	v_add_f64 v[158:159], v[163:164], v[167:168]
	v_add_f64 v[156:157], v[165:166], -v[126:127]
	v_add_f64 v[154:155], v[179:180], -v[112:113]
	v_add_f64 v[161:162], v[126:127], v[165:166]
	v_add_f64 v[163:164], v[167:168], -v[163:164]
	v_add_f64 v[167:168], v[112:113], v[179:180]
	v_add_f64 v[112:113], v[96:97], v[118:119]
	;; [unrolled: 1-line block ×3, first 2 shown]
	v_add_f64 v[96:97], v[96:97], -v[118:119]
	v_add_f64 v[98:99], v[98:99], -v[120:121]
	v_add_f64 v[118:119], v[100:101], v[114:115]
	v_add_f64 v[120:121], v[102:103], v[116:117]
	v_add_f64 v[100:101], v[100:101], -v[114:115]
	v_add_f64 v[102:103], v[102:103], -v[116:117]
	v_add_f64 v[114:115], v[104:105], v[108:109]
	v_add_f64 v[116:117], v[106:107], v[110:111]
	v_add_f64 v[104:105], v[108:109], -v[104:105]
	v_add_f64 v[106:107], v[110:111], -v[106:107]
	v_add_f64 v[108:109], v[118:119], v[112:113]
	v_add_f64 v[110:111], v[120:121], v[126:127]
	v_add_f64 v[122:123], v[183:184], v[185:186]
	v_add_f64 v[152:153], v[189:190], v[177:178]
	v_add_f64 v[165:166], v[177:178], -v[189:190]
	v_add_f64 v[177:178], v[185:186], -v[183:184]
	v_add_f64 v[179:180], v[181:182], v[187:188]
	v_add_f64 v[181:182], v[118:119], -v[112:113]
	v_add_f64 v[183:184], v[120:121], -v[126:127]
	;; [unrolled: 1-line block ×6, first 2 shown]
	v_add_f64 v[185:186], v[104:105], v[100:101]
	v_add_f64 v[187:188], v[106:107], v[102:103]
	v_add_f64 v[189:190], v[104:105], -v[100:101]
	v_add_f64 v[194:195], v[106:107], -v[102:103]
	v_add_f64 v[108:109], v[114:115], v[108:109]
	v_add_f64 v[110:111], v[116:117], v[110:111]
	v_add_f64 v[104:105], v[96:97], -v[104:105]
	v_add_f64 v[106:107], v[98:99], -v[106:107]
	;; [unrolled: 1-line block ×4, first 2 shown]
	v_add_f64 v[96:97], v[185:186], v[96:97]
	v_add_f64 v[98:99], v[187:188], v[98:99]
	;; [unrolled: 1-line block ×4, first 2 shown]
	v_mul_f64 v[112:113], v[112:113], s[2:3]
	v_mul_f64 v[114:115], v[126:127], s[2:3]
	;; [unrolled: 1-line block ×8, first 2 shown]
	v_fma_f64 v[108:109], v[108:109], s[18:19], v[8:9]
	v_fma_f64 v[110:111], v[110:111], s[18:19], v[10:11]
	;; [unrolled: 1-line block ×4, first 2 shown]
	v_fma_f64 v[116:117], v[181:182], s[20:21], -v[116:117]
	v_fma_f64 v[126:127], v[183:184], s[20:21], -v[126:127]
	;; [unrolled: 1-line block ×4, first 2 shown]
	v_fma_f64 v[181:182], v[104:105], s[26:27], v[185:186]
	v_fma_f64 v[183:184], v[106:107], s[26:27], v[187:188]
	v_fma_f64 v[100:101], v[100:101], s[12:13], -v[185:186]
	v_fma_f64 v[102:103], v[102:103], s[12:13], -v[187:188]
	;; [unrolled: 1-line block ×4, first 2 shown]
	v_add_f64 v[118:119], v[118:119], v[108:109]
	v_add_f64 v[120:121], v[120:121], v[110:111]
	;; [unrolled: 1-line block ×6, first 2 shown]
	v_fma_f64 v[181:182], v[96:97], s[22:23], v[181:182]
	v_fma_f64 v[183:184], v[98:99], s[22:23], v[183:184]
	;; [unrolled: 1-line block ×6, first 2 shown]
	v_add_f64 v[98:99], v[120:121], -v[181:182]
	v_add_f64 v[96:97], v[183:184], v[118:119]
	v_add_f64 v[106:107], v[110:111], v[126:127]
	v_add_f64 v[104:105], v[116:117], -v[108:109]
	v_add_f64 v[108:109], v[108:109], v[116:117]
	v_add_f64 v[110:111], v[126:127], -v[110:111]
	v_add_f64 v[116:117], v[118:119], -v[183:184]
	v_add_f64 v[118:119], v[181:182], v[120:121]
	v_add_f64 v[120:121], v[72:73], v[92:93]
	v_add_f64 v[126:127], v[76:77], v[94:95]
	v_add_f64 v[72:73], v[72:73], -v[92:93]
	v_add_f64 v[76:77], v[76:77], -v[94:95]
	v_add_f64 v[92:93], v[74:75], v[88:89]
	v_add_f64 v[94:95], v[78:79], v[90:91]
	v_add_f64 v[74:75], v[74:75], -v[88:89]
	v_add_f64 v[78:79], v[78:79], -v[90:91]
	v_add_f64 v[88:89], v[80:81], v[84:85]
	v_add_f64 v[90:91], v[82:83], v[86:87]
	;; [unrolled: 4-line block ×3, first 2 shown]
	v_add_f64 v[100:101], v[187:188], v[112:113]
	v_add_f64 v[102:103], v[114:115], -v[185:186]
	v_add_f64 v[112:113], v[112:113], -v[187:188]
	v_add_f64 v[114:115], v[185:186], v[114:115]
	v_add_f64 v[181:182], v[92:93], -v[120:121]
	v_add_f64 v[183:184], v[94:95], -v[126:127]
	;; [unrolled: 1-line block ×6, first 2 shown]
	v_add_f64 v[185:186], v[80:81], v[74:75]
	v_add_f64 v[187:188], v[82:83], v[78:79]
	v_add_f64 v[189:190], v[80:81], -v[74:75]
	v_add_f64 v[194:195], v[82:83], -v[78:79]
	;; [unrolled: 1-line block ×3, first 2 shown]
	v_add_f64 v[84:85], v[88:89], v[84:85]
	v_add_f64 v[86:87], v[90:91], v[86:87]
	v_add_f64 v[80:81], v[72:73], -v[80:81]
	v_add_f64 v[82:83], v[76:77], -v[82:83]
	v_add_f64 v[78:79], v[78:79], -v[76:77]
	v_add_f64 v[88:89], v[185:186], v[72:73]
	v_add_f64 v[76:77], v[187:188], v[76:77]
	v_mul_f64 v[90:91], v[92:93], s[0:1]
	v_add_f64 v[72:73], v[4:5], v[84:85]
	v_add_f64 v[74:75], v[6:7], v[86:87]
	v_mul_f64 v[4:5], v[120:121], s[2:3]
	v_mul_f64 v[6:7], v[126:127], s[2:3]
	;; [unrolled: 1-line block ×7, first 2 shown]
	v_fma_f64 v[84:85], v[84:85], s[18:19], v[72:73]
	v_fma_f64 v[86:87], v[86:87], s[18:19], v[74:75]
	;; [unrolled: 1-line block ×4, first 2 shown]
	v_fma_f64 v[90:91], v[181:182], s[20:21], -v[90:91]
	v_fma_f64 v[120:121], v[183:184], s[20:21], -v[120:121]
	;; [unrolled: 1-line block ×4, first 2 shown]
	v_fma_f64 v[181:182], v[80:81], s[26:27], v[126:127]
	v_fma_f64 v[183:184], v[82:83], s[26:27], v[185:186]
	v_fma_f64 v[126:127], v[196:197], s[12:13], -v[126:127]
	v_fma_f64 v[78:79], v[78:79], s[12:13], -v[185:186]
	;; [unrolled: 1-line block ×4, first 2 shown]
	v_add_f64 v[185:186], v[92:93], v[84:85]
	v_add_f64 v[187:188], v[94:95], v[86:87]
	;; [unrolled: 1-line block ×5, first 2 shown]
	v_fma_f64 v[120:121], v[88:89], s[22:23], v[181:182]
	v_fma_f64 v[181:182], v[76:77], s[22:23], v[183:184]
	;; [unrolled: 1-line block ×5, first 2 shown]
	v_add_f64 v[4:5], v[4:5], v[84:85]
	v_fma_f64 v[189:190], v[76:77], s[22:23], v[82:83]
	v_cmp_gt_u16_e64 s[0:1], 28, v193
	v_add_f64 v[78:79], v[187:188], -v[120:121]
	v_add_f64 v[76:77], v[181:182], v[185:186]
	v_add_f64 v[86:87], v[94:95], v[92:93]
	v_add_f64 v[84:85], v[90:91], -v[126:127]
	v_add_f64 v[82:83], v[6:7], -v[183:184]
	v_add_f64 v[88:89], v[126:127], v[90:91]
	v_add_f64 v[90:91], v[92:93], -v[94:95]
	v_add_f64 v[94:95], v[183:184], v[6:7]
	v_add_f64 v[6:7], v[120:121], v[187:188]
	v_lshrrev_b32_e32 v120, 2, v193
	v_mul_u32_u24_e32 v120, 28, v120
	v_or_b32_e32 v120, v120, v160
	v_lshlrev_b32_e32 v120, 4, v120
	ds_write_b128 v120, v[20:23]
	ds_write_b128 v120, v[24:27] offset:64
	ds_write_b128 v120, v[28:31] offset:128
	;; [unrolled: 1-line block ×5, first 2 shown]
	v_lshrrev_b32_e32 v20, 2, v176
	v_mul_u32_u24_e32 v20, 28, v20
	v_or_b32_e32 v20, v20, v160
	v_lshlrev_b32_e32 v20, 4, v20
	buffer_store_dword v120, off, s[36:39], 0 offset:584 ; 4-byte Folded Spill
	ds_write_b128 v120, v[36:39] offset:384
	ds_write_b128 v20, v[16:19]
	ds_write_b128 v20, v[48:51] offset:64
	ds_write_b128 v20, v[52:55] offset:128
	;; [unrolled: 1-line block ×5, first 2 shown]
	v_lshrrev_b32_e32 v16, 2, v172
	v_mul_u32_u24_e32 v16, 28, v16
	v_or_b32_e32 v16, v16, v160
	v_lshlrev_b32_e32 v16, 4, v16
	v_add_f64 v[80:81], v[189:190], v[4:5]
	v_add_f64 v[92:93], v[4:5], -v[189:190]
	v_add_f64 v[4:5], v[185:186], -v[181:182]
	buffer_store_dword v20, off, s[36:39], 0 offset:588 ; 4-byte Folded Spill
	ds_write_b128 v20, v[60:63] offset:384
	ds_write_b128 v16, v[12:15]
	ds_write_b128 v16, v[122:125] offset:64
	ds_write_b128 v16, v[152:155] offset:128
	ds_write_b128 v16, v[156:159] offset:192
	ds_write_b128 v16, v[161:164] offset:256
	ds_write_b128 v16, v[165:168] offset:320
	v_lshrrev_b32_e32 v12, 2, v171
	v_mul_u32_u24_e32 v12, 28, v12
	v_or_b32_e32 v12, v12, v160
	v_lshlrev_b32_e32 v12, 4, v12
	buffer_store_dword v16, off, s[36:39], 0 offset:592 ; 4-byte Folded Spill
	ds_write_b128 v16, v[177:180] offset:384
	ds_write_b128 v12, v[8:11]
	ds_write_b128 v12, v[96:99] offset:64
	ds_write_b128 v12, v[100:103] offset:128
	;; [unrolled: 1-line block ×5, first 2 shown]
	v_lshrrev_b32_e32 v8, 2, v170
	v_mul_u32_u24_e32 v8, 28, v8
	v_or_b32_e32 v8, v8, v160
	v_lshlrev_b32_e32 v8, 4, v8
	buffer_store_dword v12, off, s[36:39], 0 offset:596 ; 4-byte Folded Spill
	ds_write_b128 v12, v[116:119] offset:384
	ds_write_b128 v8, v[72:75]
	ds_write_b128 v8, v[76:79] offset:64
	ds_write_b128 v8, v[80:83] offset:128
	;; [unrolled: 1-line block ×5, first 2 shown]
	buffer_store_dword v8, off, s[36:39], 0 offset:600 ; 4-byte Folded Spill
	ds_write_b128 v8, v[4:7] offset:384
	s_waitcnt lgkmcnt(0)
	; wave barrier
	s_waitcnt lgkmcnt(0)
	ds_read_b128 v[72:75], v192
	ds_read_b128 v[152:155], v192 offset:15680
	ds_read_b128 v[68:71], v192 offset:896
	;; [unrolled: 1-line block ×33, first 2 shown]
	s_and_saveexec_b64 s[2:3], s[0:1]
	s_cbranch_execz .LBB0_9
; %bb.8:
	ds_read_b128 v[4:7], v192 offset:15232
	ds_read_b128 v[0:3], v192 offset:30912
.LBB0_9:
	s_or_b64 exec, exec, s[2:3]
	s_movk_i32 s2, 0xffe4
	v_add_co_u32_e64 v168, s[2:3], s2, v193
	v_addc_co_u32_e64 v169, s[2:3], 0, -1, s[2:3]
	v_cndmask_b32_e64 v169, v169, 0, s[0:1]
	v_cndmask_b32_e64 v168, v168, v193, s[0:1]
	v_lshlrev_b64 v[177:178], 4, v[168:169]
	v_mov_b32_e32 v169, s5
	v_add_co_u32_e64 v177, s[2:3], s4, v177
	v_addc_co_u32_e64 v178, s[2:3], v169, v178, s[2:3]
	v_lshrrev_b16_e32 v169, 2, v176
	v_and_b32_e32 v169, 63, v169
	v_mul_lo_u16_e32 v169, 37, v169
	v_mov_b32_e32 v180, 28
	v_mul_lo_u16_sdwa v179, v169, v180 dst_sel:DWORD dst_unused:UNUSED_PAD src0_sel:BYTE_1 src1_sel:DWORD
	v_sub_u16_e32 v176, v176, v179
	v_and_b32_e32 v176, 0xff, v176
	v_lshlrev_b32_e32 v179, 4, v176
	global_load_dwordx4 v[216:219], v[177:178], off offset:384
	global_load_dwordx4 v[212:215], v179, s[4:5] offset:384
	v_lshrrev_b16_e32 v177, 2, v172
	v_lshrrev_b16_e32 v179, 2, v171
	v_and_b32_e32 v177, 63, v177
	v_and_b32_e32 v179, 63, v179
	v_mul_lo_u16_e32 v177, 37, v177
	v_mul_lo_u16_e32 v179, 37, v179
	v_mul_lo_u16_sdwa v178, v177, v180 dst_sel:DWORD dst_unused:UNUSED_PAD src0_sel:BYTE_1 src1_sel:DWORD
	v_mul_lo_u16_sdwa v182, v179, v180 dst_sel:DWORD dst_unused:UNUSED_PAD src0_sel:BYTE_1 src1_sel:DWORD
	v_lshrrev_b16_e32 v180, 2, v170
	v_mul_u32_u24_e32 v180, 0x4925, v180
	v_lshrrev_b32_e32 v180, 17, v180
	v_sub_u16_e32 v178, v172, v178
	v_mul_lo_u16_e32 v181, 28, v180
	v_and_b32_e32 v178, 0xff, v178
	v_sub_u16_e32 v181, v170, v181
	v_sub_u16_e32 v182, v171, v182
	v_lshlrev_b32_e32 v183, 4, v178
	v_lshlrev_b32_e32 v184, 4, v181
	v_and_b32_e32 v182, 0xff, v182
	global_load_dwordx4 v[220:223], v184, s[4:5] offset:384
	global_load_dwordx4 v[236:239], v183, s[4:5] offset:384
	v_lshlrev_b32_e32 v183, 4, v182
	global_load_dwordx4 v[228:231], v183, s[4:5] offset:384
	v_lshrrev_b16_e32 v183, 2, v174
	v_mul_u32_u24_e32 v183, 0x4925, v183
	v_lshrrev_b32_e32 v183, 17, v183
	v_mul_lo_u16_e32 v184, 28, v183
	v_sub_u16_e32 v174, v174, v184
	v_lshlrev_b32_e32 v184, 4, v174
	global_load_dwordx4 v[224:227], v184, s[4:5] offset:384
	v_lshrrev_b16_e32 v184, 2, v175
	v_mul_u32_u24_e32 v184, 0x4925, v184
	v_lshrrev_b32_e32 v184, 17, v184
	v_mul_lo_u16_e32 v185, 28, v184
	v_sub_u16_e32 v175, v175, v185
	v_lshlrev_b32_e32 v185, 4, v175
	global_load_dwordx4 v[232:235], v185, s[4:5] offset:384
	buffer_load_dword v186, off, s[36:39], 0 ; 4-byte Folded Reload
	buffer_load_dword v187, off, s[36:39], 0 offset:4 ; 4-byte Folded Reload
	v_lshrrev_b16_e32 v185, 2, v173
	v_mul_u32_u24_e32 v185, 0x4925, v185
	v_add_u16_e32 v191, 0x1f8, v193
	v_lshrrev_b16_e32 v189, 2, v191
	v_cmp_lt_u16_e64 s[2:3], 27, v193
	s_waitcnt vmcnt(8) lgkmcnt(14)
	v_mul_f64 v[194:195], v[152:153], v[218:219]
	s_waitcnt vmcnt(7)
	v_mul_f64 v[198:199], v[158:159], v[214:215]
	v_mul_f64 v[200:201], v[156:157], v[214:215]
	v_fma_f64 v[156:157], v[156:157], v[212:213], -v[198:199]
	s_waitcnt vmcnt(6)
	v_mul_f64 v[196:197], v[126:127], v[222:223]
	s_waitcnt vmcnt(5)
	v_mul_f64 v[202:203], v[162:163], v[238:239]
	v_mul_f64 v[204:205], v[160:161], v[238:239]
	s_waitcnt vmcnt(4)
	v_mul_f64 v[206:207], v[166:167], v[230:231]
	v_mul_f64 v[208:209], v[164:165], v[230:231]
	v_fma_f64 v[160:161], v[160:161], v[236:237], -v[202:203]
	s_waitcnt vmcnt(3)
	v_mul_f64 v[198:199], v[122:123], v[226:227]
	v_fma_f64 v[164:165], v[164:165], v[228:229], -v[206:207]
	s_waitcnt vmcnt(2)
	v_mul_f64 v[202:203], v[118:119], v[234:235]
	s_waitcnt vmcnt(1)
	v_mov_b32_e32 v190, v186
	v_lshrrev_b16_e32 v186, 2, v190
	v_mul_u32_u24_e32 v188, 0x4925, v186
	v_lshrrev_b32_e32 v186, 17, v185
	v_mul_lo_u16_e32 v185, 28, v186
	s_waitcnt vmcnt(0)
	v_sub_u16_e32 v187, v173, v185
	v_lshrrev_b32_e32 v185, 17, v188
	v_mul_lo_u16_e32 v188, 28, v185
	v_sub_u16_e32 v188, v190, v188
	v_lshlrev_b32_e32 v173, 4, v187
	v_lshlrev_b32_e32 v211, 4, v188
	global_load_dwordx4 v[240:243], v173, s[4:5] offset:384
	global_load_dwordx4 v[244:247], v211, s[4:5] offset:384
	v_mul_u32_u24_e32 v173, 0x4925, v189
	v_mul_f64 v[189:190], v[154:155], v[218:219]
	v_lshrrev_b32_e32 v173, 17, v173
	v_mul_lo_u16_e32 v210, 28, v173
	v_fma_f64 v[198:199], v[120:121], v[224:225], -v[198:199]
	v_fma_f64 v[202:203], v[116:117], v[232:233], -v[202:203]
	;; [unrolled: 1-line block ×3, first 2 shown]
	buffer_store_dword v216, off, s[36:39], 0 offset:620 ; 4-byte Folded Spill
	s_nop 0
	buffer_store_dword v217, off, s[36:39], 0 offset:624 ; 4-byte Folded Spill
	buffer_store_dword v218, off, s[36:39], 0 offset:628 ; 4-byte Folded Spill
	buffer_store_dword v219, off, s[36:39], 0 offset:632 ; 4-byte Folded Spill
	buffer_store_dword v212, off, s[36:39], 0 offset:604 ; 4-byte Folded Spill
	s_nop 0
	buffer_store_dword v213, off, s[36:39], 0 offset:608 ; 4-byte Folded Spill
	buffer_store_dword v214, off, s[36:39], 0 offset:612 ; 4-byte Folded Spill
	;; [unrolled: 1-line block ×3, first 2 shown]
	v_sub_u16_e32 v152, v191, v210
	buffer_store_dword v236, off, s[36:39], 0 offset:700 ; 4-byte Folded Spill
	s_nop 0
	buffer_store_dword v237, off, s[36:39], 0 offset:704 ; 4-byte Folded Spill
	buffer_store_dword v238, off, s[36:39], 0 offset:708 ; 4-byte Folded Spill
	;; [unrolled: 1-line block ×4, first 2 shown]
	s_nop 0
	buffer_store_dword v229, off, s[36:39], 0 offset:672 ; 4-byte Folded Spill
	buffer_store_dword v230, off, s[36:39], 0 offset:676 ; 4-byte Folded Spill
	;; [unrolled: 1-line block ×3, first 2 shown]
	v_lshlrev_b32_e32 v153, 4, v152
	s_waitcnt vmcnt(17)
	v_mul_f64 v[206:207], v[114:115], v[242:243]
	v_fma_f64 v[154:155], v[154:155], v[216:217], v[194:195]
	v_fma_f64 v[194:195], v[124:125], v[220:221], -v[196:197]
	v_mul_f64 v[196:197], v[124:125], v[222:223]
	v_add_u16_e32 v125, 0x230, v193
	v_lshrrev_b16_e32 v124, 2, v125
	v_mul_u32_u24_e32 v124, 0x4925, v124
	v_lshrrev_b32_e32 v124, 17, v124
	v_fma_f64 v[158:159], v[158:159], v[212:213], v[200:201]
	global_load_dwordx4 v[210:213], v153, s[4:5] offset:384
	v_mul_lo_u16_e32 v153, 28, v124
	v_sub_u16_e32 v125, v125, v153
	v_lshlrev_b32_e32 v153, 4, v125
	global_load_dwordx4 v[214:217], v153, s[4:5] offset:384
	s_nop 0
	buffer_store_dword v220, off, s[36:39], 0 offset:636 ; 4-byte Folded Spill
	s_nop 0
	buffer_store_dword v221, off, s[36:39], 0 offset:640 ; 4-byte Folded Spill
	buffer_store_dword v222, off, s[36:39], 0 offset:644 ; 4-byte Folded Spill
	;; [unrolled: 1-line block ×3, first 2 shown]
	v_mul_f64 v[200:201], v[120:121], v[226:227]
	v_add_u16_e32 v121, 0x2a0, v193
	v_lshrrev_b16_e32 v120, 2, v121
	v_mul_u32_u24_e32 v120, 0x4925, v120
	v_lshrrev_b32_e32 v120, 17, v120
	v_fma_f64 v[166:167], v[166:167], v[228:229], v[208:209]
	v_fma_f64 v[162:163], v[162:163], v[236:237], v[204:205]
	v_mul_f64 v[204:205], v[116:117], v[234:235]
	v_add_u16_e32 v117, 0x310, v193
	v_lshrrev_b16_e32 v116, 2, v117
	v_mul_u32_u24_e32 v116, 0x4925, v116
	v_lshrrev_b32_e32 v116, 17, v116
	v_mul_f64 v[208:209], v[112:113], v[242:243]
	v_fma_f64 v[112:113], v[112:113], v[240:241], -v[206:207]
	s_waitcnt vmcnt(22)
	v_mul_f64 v[206:207], v[110:111], v[246:247]
	v_fma_f64 v[196:197], v[126:127], v[220:221], v[196:197]
	v_add_u16_e32 v127, 0x268, v193
	v_lshrrev_b16_e32 v126, 2, v127
	v_mul_u32_u24_e32 v126, 0x4925, v126
	v_lshrrev_b32_e32 v126, 17, v126
	v_mul_lo_u16_e32 v153, 28, v126
	v_sub_u16_e32 v127, v127, v153
	v_lshlrev_b32_e32 v153, 4, v127
	global_load_dwordx4 v[218:221], v153, s[4:5] offset:384
	v_mul_lo_u16_e32 v153, 28, v120
	v_sub_u16_e32 v121, v121, v153
	v_lshlrev_b32_e32 v153, 4, v121
	global_load_dwordx4 v[228:231], v153, s[4:5] offset:384
	s_nop 0
	buffer_store_dword v224, off, s[36:39], 0 offset:652 ; 4-byte Folded Spill
	s_nop 0
	buffer_store_dword v225, off, s[36:39], 0 offset:656 ; 4-byte Folded Spill
	buffer_store_dword v226, off, s[36:39], 0 offset:660 ; 4-byte Folded Spill
	;; [unrolled: 1-line block ×3, first 2 shown]
	v_fma_f64 v[200:201], v[122:123], v[224:225], v[200:201]
	v_add_u16_e32 v123, 0x2d8, v193
	v_lshrrev_b16_e32 v122, 2, v123
	v_mul_u32_u24_e32 v122, 0x4925, v122
	v_lshrrev_b32_e32 v122, 17, v122
	v_mul_lo_u16_e32 v153, 28, v122
	v_sub_u16_e32 v123, v123, v153
	v_lshlrev_b32_e32 v153, 4, v123
	global_load_dwordx4 v[224:227], v153, s[4:5] offset:384
	v_mul_lo_u16_e32 v153, 28, v116
	v_sub_u16_e32 v153, v117, v153
	v_lshlrev_b32_e32 v117, 4, v153
	global_load_dwordx4 v[236:239], v117, s[4:5] offset:384
	s_nop 0
	buffer_store_dword v232, off, s[36:39], 0 offset:684 ; 4-byte Folded Spill
	s_nop 0
	buffer_store_dword v233, off, s[36:39], 0 offset:688 ; 4-byte Folded Spill
	buffer_store_dword v234, off, s[36:39], 0 offset:692 ; 4-byte Folded Spill
	;; [unrolled: 1-line block ×3, first 2 shown]
	v_fma_f64 v[204:205], v[118:119], v[232:233], v[204:205]
	v_add_u16_e32 v118, 0x348, v193
	v_lshrrev_b16_e32 v117, 2, v118
	v_mul_u32_u24_e32 v117, 0x4925, v117
	v_lshrrev_b32_e32 v117, 17, v117
	v_mul_lo_u16_e32 v119, 28, v117
	v_sub_u16_e32 v118, v118, v119
	v_lshlrev_b32_e32 v119, 4, v118
	global_load_dwordx4 v[232:235], v119, s[4:5] offset:384
	s_nop 0
	buffer_store_dword v240, off, s[36:39], 0 offset:716 ; 4-byte Folded Spill
	s_nop 0
	buffer_store_dword v241, off, s[36:39], 0 offset:720 ; 4-byte Folded Spill
	buffer_store_dword v242, off, s[36:39], 0 offset:724 ; 4-byte Folded Spill
	;; [unrolled: 1-line block ×3, first 2 shown]
	v_fma_f64 v[114:115], v[114:115], v[240:241], v[208:209]
	v_mul_f64 v[208:209], v[108:109], v[246:247]
	v_fma_f64 v[108:109], v[108:109], v[244:245], -v[206:207]
	buffer_store_dword v244, off, s[36:39], 0 offset:732 ; 4-byte Folded Spill
	s_nop 0
	buffer_store_dword v245, off, s[36:39], 0 offset:736 ; 4-byte Folded Spill
	buffer_store_dword v246, off, s[36:39], 0 offset:740 ; 4-byte Folded Spill
	;; [unrolled: 1-line block ×3, first 2 shown]
	s_waitcnt vmcnt(26)
	v_mul_f64 v[206:207], v[106:107], v[212:213]
	v_fma_f64 v[206:207], v[104:105], v[210:211], -v[206:207]
	v_fma_f64 v[110:111], v[110:111], v[244:245], v[208:209]
	v_mul_f64 v[208:209], v[104:105], v[212:213]
	buffer_store_dword v210, off, s[36:39], 0 offset:748 ; 4-byte Folded Spill
	s_nop 0
	buffer_store_dword v211, off, s[36:39], 0 offset:752 ; 4-byte Folded Spill
	buffer_store_dword v212, off, s[36:39], 0 offset:756 ; 4-byte Folded Spill
	;; [unrolled: 1-line block ×3, first 2 shown]
	s_waitcnt vmcnt(29) lgkmcnt(12)
	v_mul_f64 v[104:105], v[102:103], v[216:217]
	v_fma_f64 v[208:209], v[106:107], v[210:211], v[208:209]
	v_mul_f64 v[106:107], v[100:101], v[216:217]
	v_fma_f64 v[210:211], v[100:101], v[214:215], -v[104:105]
	buffer_store_dword v214, off, s[36:39], 0 offset:764 ; 4-byte Folded Spill
	s_nop 0
	buffer_store_dword v215, off, s[36:39], 0 offset:768 ; 4-byte Folded Spill
	buffer_store_dword v216, off, s[36:39], 0 offset:772 ; 4-byte Folded Spill
	;; [unrolled: 1-line block ×3, first 2 shown]
	s_waitcnt vmcnt(28) lgkmcnt(10)
	v_mul_f64 v[100:101], v[98:99], v[220:221]
	v_add_f64 v[104:105], v[40:41], -v[108:109]
	v_add_f64 v[108:109], v[36:37], -v[206:207]
	v_fma_f64 v[40:41], v[40:41], 2.0, -v[104:105]
	v_fma_f64 v[36:37], v[36:37], 2.0, -v[108:109]
	v_fma_f64 v[212:213], v[102:103], v[214:215], v[106:107]
	v_mul_f64 v[102:103], v[96:97], v[220:221]
	v_fma_f64 v[214:215], v[96:97], v[218:219], -v[100:101]
	buffer_store_dword v218, off, s[36:39], 0 offset:780 ; 4-byte Folded Spill
	s_nop 0
	buffer_store_dword v219, off, s[36:39], 0 offset:784 ; 4-byte Folded Spill
	buffer_store_dword v220, off, s[36:39], 0 offset:788 ; 4-byte Folded Spill
	buffer_store_dword v221, off, s[36:39], 0 offset:792 ; 4-byte Folded Spill
	s_waitcnt vmcnt(31) lgkmcnt(8)
	v_mul_f64 v[96:97], v[94:95], v[230:231]
	v_add_f64 v[100:101], v[44:45], -v[112:113]
	v_add_f64 v[106:107], v[42:43], -v[110:111]
	v_add_f64 v[110:111], v[38:39], -v[208:209]
	v_add_f64 v[112:113], v[32:33], -v[210:211]
	v_fma_f64 v[44:45], v[44:45], 2.0, -v[100:101]
	v_fma_f64 v[42:43], v[42:43], 2.0, -v[106:107]
	;; [unrolled: 1-line block ×4, first 2 shown]
	v_fma_f64 v[216:217], v[98:99], v[218:219], v[102:103]
	v_mul_f64 v[98:99], v[92:93], v[230:231]
	v_fma_f64 v[218:219], v[92:93], v[228:229], -v[96:97]
	buffer_store_dword v228, off, s[36:39], 0 offset:796 ; 4-byte Folded Spill
	s_nop 0
	buffer_store_dword v229, off, s[36:39], 0 offset:800 ; 4-byte Folded Spill
	buffer_store_dword v230, off, s[36:39], 0 offset:804 ; 4-byte Folded Spill
	;; [unrolled: 1-line block ×3, first 2 shown]
	s_waitcnt vmcnt(30) lgkmcnt(6)
	v_mul_f64 v[92:93], v[90:91], v[226:227]
	v_add_f64 v[96:97], v[48:49], -v[202:203]
	v_add_f64 v[102:103], v[46:47], -v[114:115]
	v_add_f64 v[114:115], v[34:35], -v[212:213]
	v_fma_f64 v[222:223], v[88:89], v[224:225], -v[92:93]
	v_add_f64 v[92:93], v[52:53], -v[198:199]
	v_fma_f64 v[48:49], v[48:49], 2.0, -v[96:97]
	v_fma_f64 v[46:47], v[46:47], 2.0, -v[102:103]
	;; [unrolled: 1-line block ×4, first 2 shown]
	v_fma_f64 v[220:221], v[94:95], v[228:229], v[98:99]
	v_mul_f64 v[94:95], v[88:89], v[226:227]
	buffer_store_dword v224, off, s[36:39], 0 offset:812 ; 4-byte Folded Spill
	s_nop 0
	buffer_store_dword v225, off, s[36:39], 0 offset:816 ; 4-byte Folded Spill
	buffer_store_dword v226, off, s[36:39], 0 offset:820 ; 4-byte Folded Spill
	;; [unrolled: 1-line block ×3, first 2 shown]
	s_waitcnt vmcnt(33) lgkmcnt(4)
	v_mul_f64 v[88:89], v[86:87], v[238:239]
	v_add_f64 v[98:99], v[50:51], -v[204:205]
	v_fma_f64 v[226:227], v[84:85], v[236:237], -v[88:89]
	v_fma_f64 v[50:51], v[50:51], 2.0, -v[98:99]
	v_fma_f64 v[224:225], v[90:91], v[224:225], v[94:95]
	v_mul_f64 v[90:91], v[84:85], v[238:239]
	buffer_store_dword v236, off, s[36:39], 0 offset:828 ; 4-byte Folded Spill
	s_nop 0
	buffer_store_dword v237, off, s[36:39], 0 offset:832 ; 4-byte Folded Spill
	buffer_store_dword v238, off, s[36:39], 0 offset:836 ; 4-byte Folded Spill
	;; [unrolled: 1-line block ×3, first 2 shown]
	s_waitcnt vmcnt(32) lgkmcnt(2)
	v_mul_f64 v[84:85], v[82:83], v[234:235]
	v_add_f64 v[94:95], v[54:55], -v[200:201]
	v_fma_f64 v[230:231], v[80:81], v[232:233], -v[84:85]
	v_fma_f64 v[54:55], v[54:55], 2.0, -v[94:95]
	v_add_f64 v[198:199], v[12:13], -v[230:231]
	v_fma_f64 v[12:13], v[12:13], 2.0, -v[198:199]
	v_fma_f64 v[228:229], v[86:87], v[236:237], v[90:91]
	v_mul_f64 v[86:87], v[80:81], v[234:235]
	buffer_store_dword v232, off, s[36:39], 0 offset:844 ; 4-byte Folded Spill
	s_nop 0
	buffer_store_dword v233, off, s[36:39], 0 offset:848 ; 4-byte Folded Spill
	buffer_store_dword v234, off, s[36:39], 0 offset:852 ; 4-byte Folded Spill
	;; [unrolled: 1-line block ×3, first 2 shown]
	v_or_b32_e32 v80, 0x380, v193
	v_lshrrev_b16_e32 v81, 2, v80
	v_mul_u32_u24_e32 v81, 0x4925, v81
	v_lshrrev_b32_e32 v119, 17, v81
	v_mul_lo_u16_e32 v81, 28, v119
	v_sub_u16_e32 v191, v80, v81
	v_lshlrev_b32_e32 v80, 4, v191
	v_add_u16_e32 v81, 0x3b8, v193
	v_add_f64 v[90:91], v[58:59], -v[196:197]
	v_add_f64 v[196:197], v[18:19], -v[228:229]
	v_fma_f64 v[58:59], v[58:59], 2.0, -v[90:91]
	v_fma_f64 v[18:19], v[18:19], 2.0, -v[196:197]
	v_fma_f64 v[232:233], v[82:83], v[232:233], v[86:87]
	global_load_dwordx4 v[86:89], v80, s[4:5] offset:384
	v_lshrrev_b16_e32 v82, 2, v81
	v_mul_u32_u24_e32 v82, 0x4925, v82
	v_lshrrev_b32_e32 v82, 17, v82
	v_mul_lo_u16_e32 v82, 28, v82
	v_sub_u16_e32 v81, v81, v82
	v_lshlrev_b32_e32 v81, 4, v81
	global_load_dwordx4 v[82:85], v81, s[4:5] offset:384
	v_add_f64 v[200:201], v[14:15], -v[232:233]
	buffer_store_dword v81, off, s[36:39], 0 offset:580 ; 4-byte Folded Spill
	v_fma_f64 v[14:15], v[14:15], 2.0, -v[200:201]
	s_waitcnt vmcnt(2) lgkmcnt(0)
	v_mul_f64 v[80:81], v[78:79], v[88:89]
	v_fma_f64 v[234:235], v[76:77], v[86:87], -v[80:81]
	v_mul_f64 v[76:77], v[76:77], v[88:89]
	buffer_store_dword v86, off, s[36:39], 0 offset:928 ; 4-byte Folded Spill
	s_nop 0
	buffer_store_dword v87, off, s[36:39], 0 offset:932 ; 4-byte Folded Spill
	buffer_store_dword v88, off, s[36:39], 0 offset:936 ; 4-byte Folded Spill
	;; [unrolled: 1-line block ×3, first 2 shown]
	v_add_f64 v[80:81], v[64:65], -v[160:161]
	v_add_f64 v[88:89], v[56:57], -v[194:195]
	;; [unrolled: 1-line block ×4, first 2 shown]
	v_fma_f64 v[64:65], v[64:65], 2.0, -v[80:81]
	v_fma_f64 v[56:57], v[56:57], 2.0, -v[88:89]
	;; [unrolled: 1-line block ×4, first 2 shown]
	v_fma_f64 v[236:237], v[78:79], v[86:87], v[76:77]
	s_waitcnt vmcnt(5)
	v_mul_f64 v[76:77], v[2:3], v[84:85]
	v_add_f64 v[78:79], v[70:71], -v[158:159]
	v_cndmask_b32_e64 v158, 0, 56, s[2:3]
	v_add_f64 v[86:87], v[62:63], -v[166:167]
	v_add_lshl_u32 v158, v168, v158, 4
	v_add_f64 v[159:160], v[24:25], -v[218:219]
	v_add_f64 v[204:205], v[10:11], -v[236:237]
	v_fma_f64 v[238:239], v[0:1], v[82:83], -v[76:77]
	v_mul_f64 v[0:1], v[0:1], v[84:85]
	buffer_store_dword v82, off, s[36:39], 0 offset:1676 ; 4-byte Folded Spill
	s_nop 0
	buffer_store_dword v83, off, s[36:39], 0 offset:1680 ; 4-byte Folded Spill
	buffer_store_dword v84, off, s[36:39], 0 offset:1684 ; 4-byte Folded Spill
	;; [unrolled: 1-line block ×3, first 2 shown]
	v_add_f64 v[76:77], v[68:69], -v[156:157]
	v_add_f64 v[84:85], v[60:61], -v[164:165]
	s_waitcnt lgkmcnt(0)
	; wave barrier
	v_fma_f64 v[70:71], v[70:71], 2.0, -v[78:79]
	v_fma_f64 v[62:63], v[62:63], 2.0, -v[86:87]
	v_add_f64 v[156:157], v[30:31], -v[216:217]
	v_add_f64 v[165:166], v[22:23], -v[224:225]
	v_fma_f64 v[68:69], v[68:69], 2.0, -v[76:77]
	v_fma_f64 v[60:61], v[60:61], 2.0, -v[84:85]
	;; [unrolled: 1-line block ×6, first 2 shown]
	v_fma_f64 v[240:241], v[2:3], v[82:83], v[0:1]
	v_add_f64 v[0:1], v[72:73], -v[189:190]
	v_add_f64 v[2:3], v[74:75], -v[154:155]
	;; [unrolled: 1-line block ×6, first 2 shown]
	v_fma_f64 v[72:73], v[72:73], 2.0, -v[0:1]
	v_fma_f64 v[74:75], v[74:75], 2.0, -v[2:3]
	;; [unrolled: 1-line block ×6, first 2 shown]
	ds_write_b128 v158, v[72:75]
	v_add_f64 v[72:73], v[4:5], -v[238:239]
	v_add_f64 v[74:75], v[6:7], -v[240:241]
	buffer_store_dword v72, off, s[36:39], 0 offset:16 ; 4-byte Folded Spill
	s_nop 0
	buffer_store_dword v73, off, s[36:39], 0 offset:20 ; 4-byte Folded Spill
	buffer_store_dword v74, off, s[36:39], 0 offset:24 ; 4-byte Folded Spill
	;; [unrolled: 1-line block ×4, first 2 shown]
	ds_write_b128 v158, v[0:3] offset:448
	v_mov_b32_e32 v158, 56
	v_mul_u32_u24_sdwa v0, v169, v158 dst_sel:DWORD dst_unused:UNUSED_PAD src0_sel:BYTE_1 src1_sel:DWORD
	v_add_lshl_u32 v0, v0, v176, 4
	ds_write_b128 v0, v[68:71]
	buffer_store_dword v0, off, s[36:39], 0 offset:864 ; 4-byte Folded Spill
	ds_write_b128 v0, v[76:79] offset:448
	v_mul_u32_u24_sdwa v0, v177, v158 dst_sel:DWORD dst_unused:UNUSED_PAD src0_sel:BYTE_1 src1_sel:DWORD
	v_add_lshl_u32 v0, v0, v178, 4
	ds_write_b128 v0, v[64:67]
	buffer_store_dword v0, off, s[36:39], 0 offset:868 ; 4-byte Folded Spill
	ds_write_b128 v0, v[80:83] offset:448
	;; [unrolled: 5-line block ×3, first 2 shown]
	v_mad_legacy_u16 v0, v180, 56, v181
	v_lshlrev_b32_e32 v0, 4, v0
	ds_write_b128 v0, v[56:59]
	buffer_store_dword v0, off, s[36:39], 0 offset:876 ; 4-byte Folded Spill
	ds_write_b128 v0, v[88:91] offset:448
	v_mad_legacy_u16 v0, v183, 56, v174
	v_lshlrev_b32_e32 v0, 4, v0
	ds_write_b128 v0, v[52:55]
	buffer_store_dword v0, off, s[36:39], 0 offset:880 ; 4-byte Folded Spill
	ds_write_b128 v0, v[92:95] offset:448
	;; [unrolled: 5-line block ×13, first 2 shown]
	s_and_saveexec_b64 s[2:3], s[0:1]
	s_cbranch_execz .LBB0_11
; %bb.10:
	buffer_load_dword v8, off, s[36:39], 0 offset:16 ; 4-byte Folded Reload
	buffer_load_dword v9, off, s[36:39], 0 offset:20 ; 4-byte Folded Reload
	;; [unrolled: 1-line block ×4, first 2 shown]
	s_waitcnt vmcnt(2)
	v_fma_f64 v[0:1], v[4:5], 2.0, -v[8:9]
	buffer_load_dword v4, off, s[36:39], 0 offset:580 ; 4-byte Folded Reload
	s_waitcnt vmcnt(1)
	v_fma_f64 v[2:3], v[6:7], 2.0, -v[10:11]
	s_waitcnt vmcnt(0)
	ds_write_b128 v4, v[0:3] offset:30464
	ds_write_b128 v4, v[8:11] offset:30912
.LBB0_11:
	s_or_b64 exec, exec, s[2:3]
	v_mov_b32_e32 v251, s5
	s_movk_i32 s2, 0x60
	v_mov_b32_e32 v250, s4
	v_mad_u64_u32 v[156:157], s[16:17], v193, s2, v[250:251]
	s_waitcnt lgkmcnt(0)
	; wave barrier
	s_waitcnt lgkmcnt(0)
	ds_read_b128 v[0:3], v192
	ds_read_b128 v[124:127], v192 offset:4480
	ds_read_b128 v[152:155], v192 offset:8960
	;; [unrolled: 1-line block ×34, first 2 shown]
	global_load_dwordx4 v[220:223], v[156:157], off offset:880
	global_load_dwordx4 v[224:227], v[156:157], off offset:864
	;; [unrolled: 1-line block ×6, first 2 shown]
	v_mov_b32_e32 v252, s5
	s_mov_b32 s24, 0x37e14327
	s_mov_b32 s20, 0xe976ee23
	s_mov_b32 s25, 0x3fe948f6
	s_mov_b32 s21, 0xbfe11646
	s_mov_b32 s22, 0x5476071b
	s_mov_b32 s30, 0xb247c609
	s_mov_b32 s23, 0x3fe77f67
	s_mov_b32 s29, 0xbfe77f67
	s_mov_b32 s28, s22
	s_mov_b32 s31, 0x3fd5d0dc
	s_mov_b32 s35, 0xbfd5d0dc
	s_mov_b32 s34, s30
	s_mov_b32 s26, 0x37c3f68c
	s_mov_b32 s27, 0x3fdc38aa
	s_movk_i32 s5, 0x1840
	s_add_u32 s12, s6, 0x7a80
	s_addc_u32 s13, s7, 0
	s_waitcnt vmcnt(2) lgkmcnt(14)
	v_mul_f64 v[167:168], v[126:127], v[242:243]
	v_fma_f64 v[210:211], v[124:125], v[240:241], -v[167:168]
	v_mul_f64 v[124:125], v[124:125], v[242:243]
	v_fma_f64 v[212:213], v[126:127], v[240:241], v[124:125]
	v_mul_f64 v[124:125], v[154:155], v[234:235]
	v_fma_f64 v[200:201], v[152:153], v[232:233], -v[124:125]
	v_mul_f64 v[124:125], v[152:153], v[234:235]
	v_fma_f64 v[204:205], v[154:155], v[232:233], v[124:125]
	;; [unrolled: 4-line block ×4, first 2 shown]
	s_waitcnt vmcnt(0)
	v_mul_f64 v[124:125], v[122:123], v[246:247]
	v_fma_f64 v[214:215], v[120:121], v[244:245], -v[124:125]
	v_mul_f64 v[120:121], v[120:121], v[246:247]
	v_fma_f64 v[216:217], v[122:123], v[244:245], v[120:121]
	v_mul_f64 v[120:121], v[118:119], v[230:231]
	v_fma_f64 v[218:219], v[116:117], v[228:229], -v[120:121]
	v_mul_f64 v[116:117], v[116:117], v[230:231]
	v_fma_f64 v[236:237], v[118:119], v[228:229], v[116:117]
	;; [unrolled: 4-line block ×8, first 2 shown]
	v_lshrrev_b16_e32 v92, 3, v172
	v_and_b32_e32 v92, 31, v92
	v_mul_lo_u16_e32 v92, 37, v92
	v_mul_lo_u16_sdwa v92, v92, v158 dst_sel:DWORD dst_unused:UNUSED_PAD src0_sel:BYTE_1 src1_sel:DWORD
	v_sub_u16_e32 v92, v172, v92
	v_and_b32_e32 v248, 0xff, v92
	v_mad_u64_u32 v[92:93], s[16:17], v248, s2, v[250:251]
	global_load_dwordx4 v[96:99], v[92:93], off offset:880
	global_load_dwordx4 v[100:103], v[92:93], off offset:864
	;; [unrolled: 1-line block ×4, first 2 shown]
	s_mov_b32 s16, 0x36b3c0b5
	s_mov_b32 s17, 0x3fac98ee
	s_waitcnt vmcnt(0)
	v_mul_f64 v[94:95], v[90:91], v[110:111]
	v_fma_f64 v[164:165], v[88:89], v[108:109], -v[94:95]
	v_mul_f64 v[88:89], v[88:89], v[110:111]
	buffer_store_dword v108, off, s[36:39], 0 offset:1024 ; 4-byte Folded Spill
	s_nop 0
	buffer_store_dword v109, off, s[36:39], 0 offset:1028 ; 4-byte Folded Spill
	buffer_store_dword v110, off, s[36:39], 0 offset:1032 ; 4-byte Folded Spill
	buffer_store_dword v111, off, s[36:39], 0 offset:1036 ; 4-byte Folded Spill
	v_fma_f64 v[168:169], v[90:91], v[108:109], v[88:89]
	v_mul_f64 v[88:89], v[86:87], v[106:107]
	v_fma_f64 v[160:161], v[84:85], v[104:105], -v[88:89]
	v_mul_f64 v[84:85], v[84:85], v[106:107]
	buffer_store_dword v104, off, s[36:39], 0 offset:976 ; 4-byte Folded Spill
	s_nop 0
	buffer_store_dword v105, off, s[36:39], 0 offset:980 ; 4-byte Folded Spill
	buffer_store_dword v106, off, s[36:39], 0 offset:984 ; 4-byte Folded Spill
	buffer_store_dword v107, off, s[36:39], 0 offset:988 ; 4-byte Folded Spill
	v_fma_f64 v[162:163], v[86:87], v[104:105], v[84:85]
	;; [unrolled: 9-line block ×3, first 2 shown]
	v_mul_f64 v[80:81], v[62:63], v[98:99]
	v_fma_f64 v[156:157], v[60:61], v[96:97], -v[80:81]
	v_mul_f64 v[60:61], v[60:61], v[98:99]
	buffer_store_dword v96, off, s[36:39], 0 offset:944 ; 4-byte Folded Spill
	s_nop 0
	buffer_store_dword v97, off, s[36:39], 0 offset:948 ; 4-byte Folded Spill
	buffer_store_dword v98, off, s[36:39], 0 offset:952 ; 4-byte Folded Spill
	;; [unrolled: 1-line block ×3, first 2 shown]
	global_load_dwordx4 v[80:83], v[92:93], off offset:912
	global_load_dwordx4 v[84:87], v[92:93], off offset:896
	v_fma_f64 v[60:61], v[62:63], v[96:97], v[60:61]
	s_waitcnt vmcnt(0)
	v_mul_f64 v[62:63], v[58:59], v[86:87]
	v_fma_f64 v[62:63], v[56:57], v[84:85], -v[62:63]
	v_mul_f64 v[56:57], v[56:57], v[86:87]
	buffer_store_dword v84, off, s[36:39], 0 offset:1008 ; 4-byte Folded Spill
	s_nop 0
	buffer_store_dword v85, off, s[36:39], 0 offset:1012 ; 4-byte Folded Spill
	buffer_store_dword v86, off, s[36:39], 0 offset:1016 ; 4-byte Folded Spill
	;; [unrolled: 1-line block ×3, first 2 shown]
	v_fma_f64 v[56:57], v[58:59], v[84:85], v[56:57]
	v_mul_f64 v[58:59], v[54:55], v[82:83]
	v_fma_f64 v[58:59], v[52:53], v[80:81], -v[58:59]
	v_mul_f64 v[52:53], v[52:53], v[82:83]
	buffer_store_dword v80, off, s[36:39], 0 offset:992 ; 4-byte Folded Spill
	s_nop 0
	buffer_store_dword v81, off, s[36:39], 0 offset:996 ; 4-byte Folded Spill
	buffer_store_dword v82, off, s[36:39], 0 offset:1000 ; 4-byte Folded Spill
	buffer_store_dword v83, off, s[36:39], 0 offset:1004 ; 4-byte Folded Spill
	v_fma_f64 v[52:53], v[54:55], v[80:81], v[52:53]
	v_lshrrev_b16_e32 v54, 3, v171
	v_and_b32_e32 v54, 31, v54
	v_mul_lo_u16_e32 v54, 37, v54
	v_mul_lo_u16_sdwa v54, v54, v158 dst_sel:DWORD dst_unused:UNUSED_PAD src0_sel:BYTE_1 src1_sel:DWORD
	v_sub_u16_e32 v54, v171, v54
	v_and_b32_e32 v249, 0xff, v54
	v_mad_u64_u32 v[54:55], s[2:3], v249, s2, v[250:251]
	global_load_dwordx4 v[82:85], v[54:55], off offset:880
	global_load_dwordx4 v[94:97], v[54:55], off offset:864
	;; [unrolled: 1-line block ×4, first 2 shown]
	s_waitcnt vmcnt(0) lgkmcnt(12)
	v_mul_f64 v[80:81], v[50:51], v[100:101]
	v_fma_f64 v[104:105], v[48:49], v[98:99], -v[80:81]
	v_mul_f64 v[48:49], v[48:49], v[100:101]
	buffer_store_dword v98, off, s[36:39], 0 offset:1120 ; 4-byte Folded Spill
	s_nop 0
	buffer_store_dword v99, off, s[36:39], 0 offset:1124 ; 4-byte Folded Spill
	buffer_store_dword v100, off, s[36:39], 0 offset:1128 ; 4-byte Folded Spill
	;; [unrolled: 1-line block ×3, first 2 shown]
	v_fma_f64 v[106:107], v[50:51], v[98:99], v[48:49]
	s_waitcnt lgkmcnt(11)
	v_mul_f64 v[48:49], v[46:47], v[110:111]
	v_add_f64 v[50:51], v[180:181], -v[176:177]
	v_fma_f64 v[100:101], v[44:45], v[108:109], -v[48:49]
	v_mul_f64 v[44:45], v[44:45], v[110:111]
	buffer_store_dword v108, off, s[36:39], 0 offset:1088 ; 4-byte Folded Spill
	s_nop 0
	buffer_store_dword v109, off, s[36:39], 0 offset:1092 ; 4-byte Folded Spill
	buffer_store_dword v110, off, s[36:39], 0 offset:1096 ; 4-byte Folded Spill
	;; [unrolled: 1-line block ×3, first 2 shown]
	v_add_f64 v[48:49], v[178:179], -v[174:175]
	v_fma_f64 v[102:103], v[46:47], v[108:109], v[44:45]
	s_waitcnt lgkmcnt(10)
	v_mul_f64 v[44:45], v[42:43], v[96:97]
	v_fma_f64 v[92:93], v[40:41], v[94:95], -v[44:45]
	v_mul_f64 v[40:41], v[40:41], v[96:97]
	buffer_store_dword v94, off, s[36:39], 0 offset:1056 ; 4-byte Folded Spill
	s_nop 0
	buffer_store_dword v95, off, s[36:39], 0 offset:1060 ; 4-byte Folded Spill
	buffer_store_dword v96, off, s[36:39], 0 offset:1064 ; 4-byte Folded Spill
	;; [unrolled: 1-line block ×3, first 2 shown]
	v_fma_f64 v[94:95], v[42:43], v[94:95], v[40:41]
	s_waitcnt lgkmcnt(9)
	v_mul_f64 v[40:41], v[38:39], v[84:85]
	v_fma_f64 v[96:97], v[36:37], v[82:83], -v[40:41]
	v_mul_f64 v[36:37], v[36:37], v[84:85]
	buffer_store_dword v82, off, s[36:39], 0 offset:1040 ; 4-byte Folded Spill
	s_nop 0
	buffer_store_dword v83, off, s[36:39], 0 offset:1044 ; 4-byte Folded Spill
	buffer_store_dword v84, off, s[36:39], 0 offset:1048 ; 4-byte Folded Spill
	;; [unrolled: 1-line block ×3, first 2 shown]
	v_fma_f64 v[98:99], v[38:39], v[82:83], v[36:37]
	global_load_dwordx4 v[38:41], v[54:55], off offset:912
	global_load_dwordx4 v[42:45], v[54:55], off offset:896
	s_waitcnt vmcnt(0) lgkmcnt(8)
	v_mul_f64 v[36:37], v[34:35], v[44:45]
	v_fma_f64 v[124:125], v[32:33], v[42:43], -v[36:37]
	v_mul_f64 v[32:33], v[32:33], v[44:45]
	buffer_store_dword v42, off, s[36:39], 0 offset:1104 ; 4-byte Folded Spill
	s_nop 0
	buffer_store_dword v43, off, s[36:39], 0 offset:1108 ; 4-byte Folded Spill
	buffer_store_dword v44, off, s[36:39], 0 offset:1112 ; 4-byte Folded Spill
	;; [unrolled: 1-line block ×3, first 2 shown]
	v_fma_f64 v[126:127], v[34:35], v[42:43], v[32:33]
	s_waitcnt lgkmcnt(7)
	v_mul_f64 v[32:33], v[30:31], v[40:41]
	v_fma_f64 v[152:153], v[28:29], v[38:39], -v[32:33]
	v_mul_f64 v[28:29], v[28:29], v[40:41]
	buffer_store_dword v38, off, s[36:39], 0 offset:1072 ; 4-byte Folded Spill
	s_nop 0
	buffer_store_dword v39, off, s[36:39], 0 offset:1076 ; 4-byte Folded Spill
	buffer_store_dword v40, off, s[36:39], 0 offset:1080 ; 4-byte Folded Spill
	;; [unrolled: 1-line block ×3, first 2 shown]
	v_fma_f64 v[154:155], v[30:31], v[38:39], v[28:29]
	v_lshrrev_b16_e32 v28, 3, v170
	v_mul_u32_u24_e32 v28, 0x2493, v28
	v_mul_lo_u16_sdwa v28, v28, v158 dst_sel:DWORD dst_unused:UNUSED_PAD src0_sel:WORD_1 src1_sel:DWORD
	v_sub_u16_e32 v250, v170, v28
	v_mul_lo_u16_e32 v28, 0x60, v250
	v_add_co_u32_e64 v28, s[2:3], s4, v28
	v_addc_co_u32_e64 v29, s[2:3], 0, v252, s[2:3]
	global_load_dwordx4 v[32:35], v[28:29], off offset:880
	global_load_dwordx4 v[36:39], v[28:29], off offset:864
	;; [unrolled: 1-line block ×4, first 2 shown]
	s_mov_b32 s2, 0x429ad128
	s_mov_b32 s3, 0x3febfeb5
	s_waitcnt vmcnt(0) lgkmcnt(5)
	v_mul_f64 v[30:31], v[26:27], v[46:47]
	v_fma_f64 v[120:121], v[24:25], v[44:45], -v[30:31]
	v_mul_f64 v[24:25], v[24:25], v[46:47]
	buffer_store_dword v44, off, s[36:39], 0 offset:1200 ; 4-byte Folded Spill
	s_nop 0
	buffer_store_dword v45, off, s[36:39], 0 offset:1204 ; 4-byte Folded Spill
	buffer_store_dword v46, off, s[36:39], 0 offset:1208 ; 4-byte Folded Spill
	;; [unrolled: 1-line block ×3, first 2 shown]
	v_add_f64 v[46:47], v[176:177], v[180:181]
	v_fma_f64 v[122:123], v[26:27], v[44:45], v[24:25]
	s_waitcnt lgkmcnt(4)
	v_mul_f64 v[24:25], v[22:23], v[42:43]
	v_add_f64 v[26:27], v[208:209], -v[202:203]
	v_add_f64 v[44:45], v[174:175], v[178:179]
	v_fma_f64 v[116:117], v[20:21], v[40:41], -v[24:25]
	v_mul_f64 v[20:21], v[20:21], v[42:43]
	buffer_store_dword v40, off, s[36:39], 0 offset:1168 ; 4-byte Folded Spill
	s_nop 0
	buffer_store_dword v41, off, s[36:39], 0 offset:1172 ; 4-byte Folded Spill
	buffer_store_dword v42, off, s[36:39], 0 offset:1176 ; 4-byte Folded Spill
	;; [unrolled: 1-line block ×3, first 2 shown]
	v_add_f64 v[24:25], v[206:207], -v[198:199]
	v_fma_f64 v[118:119], v[22:23], v[40:41], v[20:21]
	s_waitcnt lgkmcnt(3)
	v_mul_f64 v[20:21], v[18:19], v[38:39]
	v_add_f64 v[22:23], v[202:203], v[208:209]
	v_fma_f64 v[108:109], v[16:17], v[36:37], -v[20:21]
	v_mul_f64 v[16:17], v[16:17], v[38:39]
	buffer_store_dword v36, off, s[36:39], 0 offset:1152 ; 4-byte Folded Spill
	s_nop 0
	buffer_store_dword v37, off, s[36:39], 0 offset:1156 ; 4-byte Folded Spill
	buffer_store_dword v38, off, s[36:39], 0 offset:1160 ; 4-byte Folded Spill
	;; [unrolled: 1-line block ×3, first 2 shown]
	v_fma_f64 v[110:111], v[18:19], v[36:37], v[16:17]
	s_waitcnt lgkmcnt(2)
	v_mul_f64 v[16:17], v[14:15], v[34:35]
	v_fma_f64 v[112:113], v[12:13], v[32:33], -v[16:17]
	v_mul_f64 v[12:13], v[12:13], v[34:35]
	buffer_store_dword v32, off, s[36:39], 0 offset:1136 ; 4-byte Folded Spill
	s_nop 0
	buffer_store_dword v33, off, s[36:39], 0 offset:1140 ; 4-byte Folded Spill
	buffer_store_dword v34, off, s[36:39], 0 offset:1144 ; 4-byte Folded Spill
	;; [unrolled: 1-line block ×3, first 2 shown]
	v_fma_f64 v[114:115], v[14:15], v[32:33], v[12:13]
	global_load_dwordx4 v[14:17], v[28:29], off offset:912
	global_load_dwordx4 v[18:21], v[28:29], off offset:896
	s_waitcnt vmcnt(0) lgkmcnt(1)
	v_mul_f64 v[12:13], v[10:11], v[20:21]
	v_fma_f64 v[158:159], v[8:9], v[18:19], -v[12:13]
	v_mul_f64 v[8:9], v[8:9], v[20:21]
	buffer_store_dword v18, off, s[36:39], 0 offset:1216 ; 4-byte Folded Spill
	s_nop 0
	buffer_store_dword v19, off, s[36:39], 0 offset:1220 ; 4-byte Folded Spill
	buffer_store_dword v20, off, s[36:39], 0 offset:1224 ; 4-byte Folded Spill
	;; [unrolled: 1-line block ×3, first 2 shown]
	v_add_f64 v[12:13], v[200:201], v[214:215]
	v_add_f64 v[20:21], v[198:199], v[206:207]
	v_fma_f64 v[166:167], v[10:11], v[18:19], v[8:9]
	s_waitcnt lgkmcnt(0)
	v_mul_f64 v[8:9], v[6:7], v[16:17]
	v_add_f64 v[10:11], v[212:213], -v[236:237]
	v_add_f64 v[18:19], v[204:205], -v[216:217]
	v_fma_f64 v[170:171], v[4:5], v[14:15], -v[8:9]
	v_mul_f64 v[4:5], v[4:5], v[16:17]
	buffer_store_dword v14, off, s[36:39], 0 offset:1184 ; 4-byte Folded Spill
	s_nop 0
	buffer_store_dword v15, off, s[36:39], 0 offset:1188 ; 4-byte Folded Spill
	buffer_store_dword v16, off, s[36:39], 0 offset:1192 ; 4-byte Folded Spill
	buffer_store_dword v17, off, s[36:39], 0 offset:1196 ; 4-byte Folded Spill
	v_add_f64 v[8:9], v[210:211], -v[218:219]
	v_add_f64 v[16:17], v[200:201], -v[214:215]
	v_add_f64 v[38:39], v[26:27], v[18:19]
	v_add_f64 v[42:43], v[26:27], -v[18:19]
	v_add_f64 v[18:19], v[18:19], -v[10:11]
	;; [unrolled: 1-line block ×3, first 2 shown]
	s_waitcnt lgkmcnt(0)
	; wave barrier
	v_add_f64 v[36:37], v[24:25], v[16:17]
	v_add_f64 v[40:41], v[24:25], -v[16:17]
	v_add_f64 v[16:17], v[16:17], -v[8:9]
	;; [unrolled: 1-line block ×3, first 2 shown]
	v_add_f64 v[10:11], v[38:39], v[10:11]
	v_mul_f64 v[38:39], v[42:43], s[20:21]
	v_mul_f64 v[42:43], v[18:19], s[2:3]
	v_add_f64 v[8:9], v[36:37], v[8:9]
	v_mul_f64 v[36:37], v[40:41], s[20:21]
	v_mul_f64 v[40:41], v[16:17], s[2:3]
	v_fma_f64 v[18:19], v[18:19], s[2:3], -v[38:39]
	v_fma_f64 v[16:17], v[16:17], s[2:3], -v[36:37]
	v_fma_f64 v[172:173], v[6:7], v[14:15], v[4:5]
	v_add_f64 v[4:5], v[210:211], v[218:219]
	v_add_f64 v[6:7], v[212:213], v[236:237]
	;; [unrolled: 1-line block ×4, first 2 shown]
	v_add_f64 v[32:33], v[12:13], -v[4:5]
	v_add_f64 v[30:31], v[14:15], v[6:7]
	v_add_f64 v[34:35], v[14:15], -v[6:7]
	v_add_f64 v[4:5], v[4:5], -v[20:21]
	v_add_f64 v[6:7], v[6:7], -v[22:23]
	v_add_f64 v[12:13], v[20:21], -v[12:13]
	v_add_f64 v[14:15], v[22:23], -v[14:15]
	v_add_f64 v[20:21], v[20:21], v[28:29]
	v_add_f64 v[22:23], v[22:23], v[30:31]
	v_mul_f64 v[4:5], v[4:5], s[24:25]
	v_mul_f64 v[6:7], v[6:7], s[24:25]
	;; [unrolled: 1-line block ×4, first 2 shown]
	v_add_f64 v[0:1], v[0:1], v[20:21]
	v_add_f64 v[2:3], v[2:3], v[22:23]
	v_fma_f64 v[12:13], v[12:13], s[16:17], v[4:5]
	v_fma_f64 v[14:15], v[14:15], s[16:17], v[6:7]
	v_fma_f64 v[28:29], v[32:33], s[22:23], -v[28:29]
	v_fma_f64 v[30:31], v[34:35], s[22:23], -v[30:31]
	v_fma_f64 v[20:21], v[20:21], s[18:19], v[0:1]
	v_fma_f64 v[4:5], v[32:33], s[28:29], -v[4:5]
	v_fma_f64 v[22:23], v[22:23], s[18:19], v[2:3]
	;; [unrolled: 2-line block ×3, first 2 shown]
	v_fma_f64 v[34:35], v[26:27], s[30:31], v[38:39]
	v_fma_f64 v[24:25], v[24:25], s[34:35], -v[40:41]
	v_fma_f64 v[26:27], v[26:27], s[34:35], -v[42:43]
	v_add_f64 v[36:37], v[12:13], v[20:21]
	v_add_f64 v[28:29], v[28:29], v[20:21]
	v_add_f64 v[38:39], v[14:15], v[22:23]
	v_add_f64 v[30:31], v[30:31], v[22:23]
	v_add_f64 v[20:21], v[4:5], v[20:21]
	v_add_f64 v[22:23], v[6:7], v[22:23]
	v_fma_f64 v[32:33], v[8:9], s[26:27], v[32:33]
	v_fma_f64 v[34:35], v[10:11], s[26:27], v[34:35]
	;; [unrolled: 1-line block ×6, first 2 shown]
	v_add_f64 v[10:11], v[38:39], -v[32:33]
	v_add_f64 v[8:9], v[34:35], v[36:37]
	v_add_f64 v[14:15], v[40:41], v[30:31]
	v_add_f64 v[12:13], v[28:29], -v[16:17]
	v_add_f64 v[6:7], v[22:23], -v[42:43]
	v_add_f64 v[4:5], v[24:25], v[20:21]
	v_add_f64 v[16:17], v[16:17], v[28:29]
	v_add_f64 v[18:19], v[30:31], -v[40:41]
	v_add_f64 v[24:25], v[20:21], -v[24:25]
	v_add_f64 v[26:27], v[42:43], v[22:23]
	v_add_f64 v[20:21], v[36:37], -v[34:35]
	v_add_f64 v[22:23], v[32:33], v[38:39]
	v_add_f64 v[28:29], v[186:187], v[194:195]
	;; [unrolled: 1-line block ×5, first 2 shown]
	v_add_f64 v[32:33], v[186:187], -v[194:195]
	v_add_f64 v[34:35], v[188:189], -v[196:197]
	;; [unrolled: 1-line block ×4, first 2 shown]
	v_lshlrev_b32_e32 v194, 4, v248
	v_lshlrev_b32_e32 v195, 4, v249
	v_add_f64 v[54:55], v[36:37], v[28:29]
	v_add_f64 v[80:81], v[38:39], v[30:31]
	v_add_f64 v[82:83], v[36:37], -v[28:29]
	v_add_f64 v[84:85], v[38:39], -v[30:31]
	;; [unrolled: 1-line block ×6, first 2 shown]
	v_add_f64 v[86:87], v[48:49], v[40:41]
	v_add_f64 v[174:175], v[50:51], v[42:43]
	v_add_f64 v[176:177], v[48:49], -v[40:41]
	v_add_f64 v[178:179], v[50:51], -v[42:43]
	;; [unrolled: 1-line block ×4, first 2 shown]
	v_add_f64 v[44:45], v[44:45], v[54:55]
	v_add_f64 v[46:47], v[46:47], v[80:81]
	v_add_f64 v[48:49], v[32:33], -v[48:49]
	v_add_f64 v[50:51], v[34:35], -v[50:51]
	v_add_f64 v[32:33], v[86:87], v[32:33]
	v_add_f64 v[34:35], v[174:175], v[34:35]
	v_mul_f64 v[28:29], v[28:29], s[24:25]
	v_mul_f64 v[30:31], v[30:31], s[24:25]
	v_add_f64 v[76:77], v[76:77], v[44:45]
	v_add_f64 v[78:79], v[78:79], v[46:47]
	v_mul_f64 v[54:55], v[36:37], s[16:17]
	v_mul_f64 v[80:81], v[38:39], s[16:17]
	;; [unrolled: 1-line block ×6, first 2 shown]
	v_fma_f64 v[44:45], v[44:45], s[18:19], v[76:77]
	v_fma_f64 v[46:47], v[46:47], s[18:19], v[78:79]
	v_fma_f64 v[36:37], v[36:37], s[16:17], v[28:29]
	v_fma_f64 v[38:39], v[38:39], s[16:17], v[30:31]
	v_fma_f64 v[54:55], v[82:83], s[22:23], -v[54:55]
	v_fma_f64 v[80:81], v[84:85], s[22:23], -v[80:81]
	;; [unrolled: 1-line block ×4, first 2 shown]
	v_fma_f64 v[82:83], v[48:49], s[30:31], v[86:87]
	v_fma_f64 v[84:85], v[50:51], s[30:31], v[174:175]
	v_fma_f64 v[40:41], v[40:41], s[2:3], -v[86:87]
	v_fma_f64 v[42:43], v[42:43], s[2:3], -v[174:175]
	;; [unrolled: 1-line block ×4, first 2 shown]
	v_add_f64 v[174:175], v[36:37], v[44:45]
	v_add_f64 v[176:177], v[38:39], v[46:47]
	;; [unrolled: 1-line block ×6, first 2 shown]
	v_fma_f64 v[178:179], v[32:33], s[26:27], v[82:83]
	v_fma_f64 v[180:181], v[34:35], s[26:27], v[84:85]
	;; [unrolled: 1-line block ×6, first 2 shown]
	v_add_f64 v[50:51], v[168:169], -v[52:53]
	v_add_f64 v[48:49], v[164:165], -v[58:59]
	;; [unrolled: 1-line block ×3, first 2 shown]
	v_add_f64 v[28:29], v[180:181], v[174:175]
	v_add_f64 v[82:83], v[40:41], v[86:87]
	v_add_f64 v[80:81], v[54:55], -v[42:43]
	v_add_f64 v[38:39], v[46:47], -v[32:33]
	v_add_f64 v[36:37], v[34:35], v[44:45]
	v_add_f64 v[84:85], v[42:43], v[54:55]
	v_add_f64 v[86:87], v[86:87], -v[40:41]
	v_add_f64 v[40:41], v[44:45], -v[34:35]
	v_add_f64 v[42:43], v[32:33], v[46:47]
	v_add_f64 v[44:45], v[164:165], v[58:59]
	;; [unrolled: 1-line block ×5, first 2 shown]
	v_add_f64 v[58:59], v[160:161], -v[62:63]
	v_add_f64 v[56:57], v[162:163], -v[56:57]
	v_add_f64 v[62:63], v[88:89], v[156:157]
	v_add_f64 v[160:161], v[90:91], v[60:61]
	v_add_f64 v[88:89], v[156:157], -v[88:89]
	v_add_f64 v[60:61], v[60:61], -v[90:91]
	v_add_f64 v[90:91], v[52:53], v[44:45]
	v_add_f64 v[156:157], v[54:55], v[46:47]
	v_add_f64 v[32:33], v[174:175], -v[180:181]
	v_add_f64 v[34:35], v[178:179], v[176:177]
	v_add_f64 v[162:163], v[52:53], -v[44:45]
	v_add_f64 v[164:165], v[54:55], -v[46:47]
	;; [unrolled: 1-line block ×6, first 2 shown]
	v_add_f64 v[44:45], v[88:89], v[58:59]
	v_add_f64 v[46:47], v[60:61], v[56:57]
	v_add_f64 v[176:177], v[88:89], -v[58:59]
	v_add_f64 v[178:179], v[60:61], -v[56:57]
	v_add_f64 v[62:63], v[62:63], v[90:91]
	v_add_f64 v[90:91], v[160:161], v[156:157]
	v_add_f64 v[88:89], v[48:49], -v[88:89]
	v_add_f64 v[60:61], v[50:51], -v[60:61]
	;; [unrolled: 1-line block ×4, first 2 shown]
	v_add_f64 v[48:49], v[44:45], v[48:49]
	v_add_f64 v[50:51], v[46:47], v[50:51]
	;; [unrolled: 1-line block ×4, first 2 shown]
	v_mul_f64 v[72:73], v[168:169], s[24:25]
	v_mul_f64 v[74:75], v[174:175], s[24:25]
	;; [unrolled: 1-line block ×8, first 2 shown]
	v_fma_f64 v[62:63], v[62:63], s[18:19], v[44:45]
	v_fma_f64 v[90:91], v[90:91], s[18:19], v[46:47]
	;; [unrolled: 1-line block ×4, first 2 shown]
	v_fma_f64 v[156:157], v[162:163], s[22:23], -v[156:157]
	v_fma_f64 v[160:161], v[164:165], s[22:23], -v[160:161]
	;; [unrolled: 1-line block ×6, first 2 shown]
	v_fma_f64 v[162:163], v[88:89], s[30:31], v[168:169]
	v_fma_f64 v[164:165], v[60:61], s[30:31], v[174:175]
	v_add_f64 v[168:169], v[52:53], v[62:63]
	v_add_f64 v[174:175], v[54:55], v[90:91]
	;; [unrolled: 1-line block ×6, first 2 shown]
	v_fma_f64 v[74:75], v[48:49], s[26:27], v[58:59]
	v_fma_f64 v[72:73], v[50:51], s[26:27], v[56:57]
	v_fma_f64 v[88:89], v[88:89], s[34:35], -v[176:177]
	v_fma_f64 v[60:61], v[60:61], s[34:35], -v[178:179]
	v_fma_f64 v[162:163], v[48:49], s[26:27], v[162:163]
	v_fma_f64 v[164:165], v[50:51], s[26:27], v[164:165]
	ds_write_b128 v192, v[0:3]
	ds_write_b128 v192, v[8:11] offset:896
	ds_write_b128 v192, v[4:7] offset:1792
	;; [unrolled: 1-line block ×13, first 2 shown]
	v_lshlrev_b32_e32 v0, 4, v250
	v_add_f64 v[58:59], v[74:75], v[160:161]
	v_add_f64 v[56:57], v[156:157], -v[72:73]
	v_add_f64 v[72:73], v[72:73], v[156:157]
	v_add_f64 v[74:75], v[160:161], -v[74:75]
	v_add_f64 v[156:157], v[104:105], v[152:153]
	v_add_f64 v[160:161], v[106:107], v[154:155]
	v_add_f64 v[104:105], v[104:105], -v[152:153]
	v_add_f64 v[106:107], v[106:107], -v[154:155]
	v_add_f64 v[152:153], v[100:101], v[124:125]
	v_add_f64 v[154:155], v[102:103], v[126:127]
	v_fma_f64 v[88:89], v[48:49], s[26:27], v[88:89]
	v_fma_f64 v[60:61], v[50:51], s[26:27], v[60:61]
	v_add_f64 v[100:101], v[100:101], -v[124:125]
	v_add_f64 v[102:103], v[102:103], -v[126:127]
	v_add_f64 v[124:125], v[92:93], v[96:97]
	v_add_f64 v[126:127], v[94:95], v[98:99]
	v_add_f64 v[92:93], v[96:97], -v[92:93]
	v_add_f64 v[94:95], v[98:99], -v[94:95]
	v_add_f64 v[96:97], v[152:153], v[156:157]
	v_add_f64 v[98:99], v[154:155], v[160:161]
	;; [unrolled: 1-line block ×3, first 2 shown]
	v_add_f64 v[54:55], v[174:175], -v[162:163]
	v_add_f64 v[48:49], v[60:61], v[62:63]
	v_add_f64 v[50:51], v[90:91], -v[88:89]
	v_add_f64 v[60:61], v[62:63], -v[60:61]
	v_add_f64 v[62:63], v[88:89], v[90:91]
	v_add_f64 v[88:89], v[168:169], -v[164:165]
	v_add_f64 v[90:91], v[162:163], v[174:175]
	v_add_f64 v[162:163], v[152:153], -v[156:157]
	v_add_f64 v[164:165], v[154:155], -v[160:161]
	;; [unrolled: 1-line block ×6, first 2 shown]
	v_add_f64 v[168:169], v[92:93], v[100:101]
	v_add_f64 v[174:175], v[94:95], v[102:103]
	v_add_f64 v[176:177], v[92:93], -v[100:101]
	v_add_f64 v[178:179], v[94:95], -v[102:103]
	v_add_f64 v[96:97], v[124:125], v[96:97]
	v_add_f64 v[98:99], v[126:127], v[98:99]
	v_add_f64 v[92:93], v[104:105], -v[92:93]
	v_add_f64 v[94:95], v[106:107], -v[94:95]
	;; [unrolled: 1-line block ×4, first 2 shown]
	v_add_f64 v[104:105], v[168:169], v[104:105]
	v_add_f64 v[106:107], v[174:175], v[106:107]
	;; [unrolled: 1-line block ×4, first 2 shown]
	v_mul_f64 v[124:125], v[156:157], s[24:25]
	v_mul_f64 v[126:127], v[160:161], s[24:25]
	;; [unrolled: 1-line block ×8, first 2 shown]
	v_fma_f64 v[96:97], v[96:97], s[18:19], v[68:69]
	v_fma_f64 v[98:99], v[98:99], s[18:19], v[70:71]
	;; [unrolled: 1-line block ×4, first 2 shown]
	v_fma_f64 v[156:157], v[162:163], s[22:23], -v[156:157]
	v_fma_f64 v[160:161], v[164:165], s[22:23], -v[160:161]
	;; [unrolled: 1-line block ×4, first 2 shown]
	v_fma_f64 v[162:163], v[92:93], s[30:31], v[168:169]
	v_fma_f64 v[164:165], v[94:95], s[30:31], v[174:175]
	v_fma_f64 v[100:101], v[100:101], s[2:3], -v[168:169]
	v_fma_f64 v[102:103], v[102:103], s[2:3], -v[174:175]
	;; [unrolled: 1-line block ×4, first 2 shown]
	v_add_f64 v[152:153], v[152:153], v[96:97]
	v_add_f64 v[154:155], v[154:155], v[98:99]
	v_add_f64 v[156:157], v[156:157], v[96:97]
	v_add_f64 v[160:161], v[160:161], v[98:99]
	v_fma_f64 v[162:163], v[104:105], s[26:27], v[162:163]
	v_fma_f64 v[164:165], v[106:107], s[26:27], v[164:165]
	;; [unrolled: 1-line block ×4, first 2 shown]
	v_add_f64 v[124:125], v[124:125], v[96:97]
	v_add_f64 v[126:127], v[126:127], v[98:99]
	v_fma_f64 v[176:177], v[104:105], s[26:27], v[92:93]
	v_fma_f64 v[178:179], v[106:107], s[26:27], v[94:95]
	v_add_f64 v[98:99], v[154:155], -v[162:163]
	v_add_f64 v[96:97], v[164:165], v[152:153]
	v_add_f64 v[102:103], v[168:169], v[160:161]
	v_add_f64 v[100:101], v[156:157], -v[174:175]
	v_add_f64 v[104:105], v[174:175], v[156:157]
	v_add_f64 v[106:107], v[160:161], -v[168:169]
	v_add_f64 v[152:153], v[152:153], -v[164:165]
	v_add_f64 v[154:155], v[162:163], v[154:155]
	v_add_f64 v[156:157], v[120:121], v[170:171]
	;; [unrolled: 1-line block ×5, first 2 shown]
	v_add_f64 v[116:117], v[116:117], -v[158:159]
	v_add_f64 v[118:119], v[118:119], -v[166:167]
	v_add_f64 v[158:159], v[108:109], v[112:113]
	v_add_f64 v[166:167], v[110:111], v[114:115]
	v_add_f64 v[108:109], v[112:113], -v[108:109]
	v_add_f64 v[110:111], v[114:115], -v[110:111]
	v_add_f64 v[112:113], v[162:163], v[156:157]
	v_add_f64 v[114:115], v[164:165], v[160:161]
	v_add_f64 v[120:121], v[120:121], -v[170:171]
	v_add_f64 v[122:123], v[122:123], -v[172:173]
	v_add_f64 v[92:93], v[178:179], v[124:125]
	v_add_f64 v[94:95], v[126:127], -v[176:177]
	v_add_f64 v[124:125], v[124:125], -v[178:179]
	;; [unrolled: 3-line block ×3, first 2 shown]
	v_add_f64 v[156:157], v[156:157], -v[158:159]
	v_add_f64 v[160:161], v[160:161], -v[166:167]
	;; [unrolled: 1-line block ×4, first 2 shown]
	v_add_f64 v[172:173], v[108:109], v[116:117]
	v_add_f64 v[174:175], v[110:111], v[118:119]
	v_add_f64 v[176:177], v[108:109], -v[116:117]
	v_add_f64 v[178:179], v[110:111], -v[118:119]
	v_add_f64 v[112:113], v[158:159], v[112:113]
	v_add_f64 v[114:115], v[166:167], v[114:115]
	v_add_f64 v[116:117], v[116:117], -v[120:121]
	v_add_f64 v[118:119], v[118:119], -v[122:123]
	;; [unrolled: 1-line block ×4, first 2 shown]
	v_add_f64 v[120:121], v[172:173], v[120:121]
	v_add_f64 v[122:123], v[174:175], v[122:123]
	;; [unrolled: 1-line block ×4, first 2 shown]
	v_mul_f64 v[156:157], v[156:157], s[24:25]
	v_mul_f64 v[158:159], v[160:161], s[24:25]
	;; [unrolled: 1-line block ×8, first 2 shown]
	v_fma_f64 v[112:113], v[112:113], s[18:19], v[64:65]
	v_fma_f64 v[114:115], v[114:115], s[18:19], v[66:67]
	;; [unrolled: 1-line block ×4, first 2 shown]
	v_fma_f64 v[160:161], v[168:169], s[22:23], -v[160:161]
	v_fma_f64 v[166:167], v[170:171], s[22:23], -v[166:167]
	;; [unrolled: 1-line block ×4, first 2 shown]
	v_fma_f64 v[168:169], v[108:109], s[30:31], v[172:173]
	v_fma_f64 v[170:171], v[110:111], s[30:31], v[174:175]
	v_fma_f64 v[108:109], v[108:109], s[34:35], -v[176:177]
	v_fma_f64 v[110:111], v[110:111], s[34:35], -v[178:179]
	;; [unrolled: 1-line block ×4, first 2 shown]
	v_add_f64 v[162:163], v[162:163], v[112:113]
	v_add_f64 v[164:165], v[164:165], v[114:115]
	v_fma_f64 v[168:169], v[120:121], s[26:27], v[168:169]
	v_fma_f64 v[170:171], v[122:123], s[26:27], v[170:171]
	v_add_f64 v[156:157], v[156:157], v[112:113]
	v_add_f64 v[158:159], v[158:159], v[114:115]
	v_fma_f64 v[176:177], v[120:121], s[26:27], v[108:109]
	v_fma_f64 v[178:179], v[122:123], s[26:27], v[110:111]
	;; [unrolled: 4-line block ×3, first 2 shown]
	v_add_f64 v[108:109], v[170:171], v[162:163]
	v_add_f64 v[110:111], v[164:165], -v[168:169]
	v_add_f64 v[114:115], v[158:159], -v[176:177]
	v_add_f64 v[112:113], v[178:179], v[156:157]
	v_add_f64 v[156:157], v[156:157], -v[178:179]
	v_add_f64 v[158:159], v[176:177], v[158:159]
	v_add_f64 v[118:119], v[172:173], v[166:167]
	v_add_f64 v[116:117], v[160:161], -v[174:175]
	v_add_f64 v[120:121], v[174:175], v[160:161]
	v_add_f64 v[122:123], v[166:167], -v[172:173]
	v_add_f64 v[160:161], v[162:163], -v[170:171]
	v_add_f64 v[162:163], v[168:169], v[164:165]
	ds_write_b128 v194, v[44:47] offset:12544
	ds_write_b128 v194, v[52:55] offset:13440
	;; [unrolled: 1-line block ×20, first 2 shown]
	v_lshlrev_b32_e32 v116, 4, v254
	v_add_co_u32_e64 v118, s[2:3], s4, v116
	v_addc_co_u32_e64 v119, s[2:3], 0, v252, s[2:3]
	v_add_co_u32_e64 v116, s[2:3], s5, v118
	v_addc_co_u32_e64 v117, s[2:3], 0, v119, s[2:3]
	s_movk_i32 s22, 0x1000
	v_add_co_u32_e64 v118, s[2:3], s22, v118
	v_addc_co_u32_e64 v119, s[2:3], 0, v119, s[2:3]
	buffer_store_dword v0, off, s[36:39], 0 offset:1232 ; 4-byte Folded Spill
	ds_write_b128 v0, v[160:163] offset:30464
	s_waitcnt lgkmcnt(0)
	; wave barrier
	s_waitcnt lgkmcnt(0)
	ds_read_b128 v[4:7], v192
	ds_read_b128 v[96:99], v192 offset:6272
	ds_read_b128 v[100:103], v192 offset:12544
	;; [unrolled: 1-line block ×34, first 2 shown]
	global_load_dwordx4 v[152:155], v[118:119], off offset:2112
	s_nop 0
	global_load_dwordx4 v[118:121], v[116:117], off offset:48
	global_load_dwordx4 v[122:125], v[116:117], off offset:32
	;; [unrolled: 1-line block ×3, first 2 shown]
	s_mov_b32 s16, 0x134454ff
	s_mov_b32 s17, 0x3fee6f0e
	;; [unrolled: 1-line block ×5, first 2 shown]
	s_waitcnt vmcnt(3) lgkmcnt(14)
	v_mul_f64 v[116:117], v[98:99], v[154:155]
	v_fma_f64 v[186:187], v[96:97], v[152:153], -v[116:117]
	v_mul_f64 v[96:97], v[96:97], v[154:155]
	buffer_store_dword v152, off, s[36:39], 0 offset:1268 ; 4-byte Folded Spill
	s_nop 0
	buffer_store_dword v153, off, s[36:39], 0 offset:1272 ; 4-byte Folded Spill
	buffer_store_dword v154, off, s[36:39], 0 offset:1276 ; 4-byte Folded Spill
	;; [unrolled: 1-line block ×3, first 2 shown]
	v_fma_f64 v[170:171], v[98:99], v[152:153], v[96:97]
	s_waitcnt vmcnt(4)
	v_mul_f64 v[96:97], v[102:103], v[158:159]
	v_fma_f64 v[254:255], v[100:101], v[156:157], -v[96:97]
	v_mul_f64 v[96:97], v[100:101], v[158:159]
	buffer_store_dword v156, off, s[36:39], 0 offset:1284 ; 4-byte Folded Spill
	s_nop 0
	buffer_store_dword v157, off, s[36:39], 0 offset:1288 ; 4-byte Folded Spill
	buffer_store_dword v158, off, s[36:39], 0 offset:1292 ; 4-byte Folded Spill
	buffer_store_dword v159, off, s[36:39], 0 offset:1296 ; 4-byte Folded Spill
	v_fma_f64 v[172:173], v[102:103], v[156:157], v[96:97]
	v_mul_f64 v[96:97], v[106:107], v[124:125]
	v_fma_f64 v[188:189], v[104:105], v[122:123], -v[96:97]
	v_mul_f64 v[96:97], v[104:105], v[124:125]
	buffer_store_dword v122, off, s[36:39], 0 offset:1252 ; 4-byte Folded Spill
	s_nop 0
	buffer_store_dword v123, off, s[36:39], 0 offset:1256 ; 4-byte Folded Spill
	buffer_store_dword v124, off, s[36:39], 0 offset:1260 ; 4-byte Folded Spill
	buffer_store_dword v125, off, s[36:39], 0 offset:1264 ; 4-byte Folded Spill
	v_fma_f64 v[174:175], v[106:107], v[122:123], v[96:97]
	;; [unrolled: 9-line block ×3, first 2 shown]
	v_lshlrev_b32_e32 v96, 4, v253
	v_add_co_u32_e64 v98, s[2:3], s4, v96
	v_addc_co_u32_e64 v99, s[2:3], 0, v252, s[2:3]
	v_add_co_u32_e64 v96, s[2:3], s5, v98
	v_addc_co_u32_e64 v97, s[2:3], 0, v99, s[2:3]
	;; [unrolled: 2-line block ×3, first 2 shown]
	global_load_dwordx4 v[106:109], v[98:99], off offset:2112
	s_nop 0
	global_load_dwordx4 v[98:101], v[96:97], off offset:48
	global_load_dwordx4 v[102:105], v[96:97], off offset:32
	;; [unrolled: 1-line block ×3, first 2 shown]
	s_waitcnt vmcnt(3)
	v_mul_f64 v[96:97], v[94:95], v[108:109]
	v_fma_f64 v[178:179], v[92:93], v[106:107], -v[96:97]
	v_mul_f64 v[92:93], v[92:93], v[108:109]
	buffer_store_dword v106, off, s[36:39], 0 offset:1332 ; 4-byte Folded Spill
	s_nop 0
	buffer_store_dword v107, off, s[36:39], 0 offset:1336 ; 4-byte Folded Spill
	buffer_store_dword v108, off, s[36:39], 0 offset:1340 ; 4-byte Folded Spill
	;; [unrolled: 1-line block ×3, first 2 shown]
	v_fma_f64 v[154:155], v[94:95], v[106:107], v[92:93]
	s_waitcnt vmcnt(4)
	v_mul_f64 v[92:93], v[90:91], v[118:119]
	v_fma_f64 v[180:181], v[88:89], v[116:117], -v[92:93]
	v_mul_f64 v[88:89], v[88:89], v[118:119]
	buffer_store_dword v116, off, s[36:39], 0 offset:1348 ; 4-byte Folded Spill
	s_nop 0
	buffer_store_dword v117, off, s[36:39], 0 offset:1352 ; 4-byte Folded Spill
	buffer_store_dword v118, off, s[36:39], 0 offset:1356 ; 4-byte Folded Spill
	buffer_store_dword v119, off, s[36:39], 0 offset:1360 ; 4-byte Folded Spill
	v_fma_f64 v[156:157], v[90:91], v[116:117], v[88:89]
	v_mul_f64 v[88:89], v[86:87], v[104:105]
	v_fma_f64 v[182:183], v[84:85], v[102:103], -v[88:89]
	v_mul_f64 v[84:85], v[84:85], v[104:105]
	buffer_store_dword v102, off, s[36:39], 0 offset:1316 ; 4-byte Folded Spill
	s_nop 0
	buffer_store_dword v103, off, s[36:39], 0 offset:1320 ; 4-byte Folded Spill
	buffer_store_dword v104, off, s[36:39], 0 offset:1324 ; 4-byte Folded Spill
	buffer_store_dword v105, off, s[36:39], 0 offset:1328 ; 4-byte Folded Spill
	v_fma_f64 v[158:159], v[86:87], v[102:103], v[84:85]
	;; [unrolled: 9-line block ×3, first 2 shown]
	buffer_load_dword v80, off, s[36:39], 0 offset:1364 ; 4-byte Folded Reload
	s_waitcnt vmcnt(0)
	v_lshlrev_b32_e32 v80, 4, v80
	v_add_co_u32_e64 v82, s[2:3], s4, v80
	v_addc_co_u32_e64 v83, s[2:3], 0, v252, s[2:3]
	v_add_co_u32_e64 v80, s[2:3], s5, v82
	v_addc_co_u32_e64 v81, s[2:3], 0, v83, s[2:3]
	;; [unrolled: 2-line block ×3, first 2 shown]
	global_load_dwordx4 v[82:85], v[82:83], off offset:2112
	s_nop 0
	global_load_dwordx4 v[86:89], v[80:81], off offset:48
	global_load_dwordx4 v[90:93], v[80:81], off offset:32
	global_load_dwordx4 v[94:97], v[80:81], off offset:16
	s_waitcnt vmcnt(3)
	v_mul_f64 v[80:81], v[114:115], v[84:85]
	v_fma_f64 v[162:163], v[112:113], v[82:83], -v[80:81]
	v_mul_f64 v[80:81], v[112:113], v[84:85]
	buffer_store_dword v82, off, s[36:39], 0 offset:1396 ; 4-byte Folded Spill
	s_nop 0
	buffer_store_dword v83, off, s[36:39], 0 offset:1400 ; 4-byte Folded Spill
	buffer_store_dword v84, off, s[36:39], 0 offset:1404 ; 4-byte Folded Spill
	;; [unrolled: 1-line block ×3, first 2 shown]
	v_fma_f64 v[84:85], v[114:115], v[82:83], v[80:81]
	s_waitcnt vmcnt(4)
	v_mul_f64 v[80:81], v[78:79], v[96:97]
	v_fma_f64 v[164:165], v[76:77], v[94:95], -v[80:81]
	v_mul_f64 v[76:77], v[76:77], v[96:97]
	buffer_store_dword v94, off, s[36:39], 0 offset:1412 ; 4-byte Folded Spill
	s_nop 0
	buffer_store_dword v95, off, s[36:39], 0 offset:1416 ; 4-byte Folded Spill
	buffer_store_dword v96, off, s[36:39], 0 offset:1420 ; 4-byte Folded Spill
	buffer_store_dword v97, off, s[36:39], 0 offset:1424 ; 4-byte Folded Spill
	v_fma_f64 v[76:77], v[78:79], v[94:95], v[76:77]
	v_mul_f64 v[78:79], v[74:75], v[92:93]
	v_fma_f64 v[166:167], v[72:73], v[90:91], -v[78:79]
	v_mul_f64 v[72:73], v[72:73], v[92:93]
	buffer_store_dword v90, off, s[36:39], 0 offset:1380 ; 4-byte Folded Spill
	s_nop 0
	buffer_store_dword v91, off, s[36:39], 0 offset:1384 ; 4-byte Folded Spill
	buffer_store_dword v92, off, s[36:39], 0 offset:1388 ; 4-byte Folded Spill
	buffer_store_dword v93, off, s[36:39], 0 offset:1392 ; 4-byte Folded Spill
	v_fma_f64 v[72:73], v[74:75], v[90:91], v[72:73]
	;; [unrolled: 9-line block ×3, first 2 shown]
	buffer_load_dword v70, off, s[36:39], 0 offset:1428 ; 4-byte Folded Reload
	s_waitcnt vmcnt(0)
	v_lshlrev_b32_e32 v70, 4, v70
	v_add_co_u32_e64 v74, s[2:3], s4, v70
	v_addc_co_u32_e64 v75, s[2:3], 0, v252, s[2:3]
	v_add_co_u32_e64 v70, s[2:3], s5, v74
	v_addc_co_u32_e64 v71, s[2:3], 0, v75, s[2:3]
	;; [unrolled: 2-line block ×3, first 2 shown]
	global_load_dwordx4 v[86:89], v[74:75], off offset:2112
	global_load_dwordx4 v[78:81], v[70:71], off offset:48
	;; [unrolled: 1-line block ×4, first 2 shown]
	s_waitcnt vmcnt(3)
	v_mul_f64 v[70:71], v[66:67], v[88:89]
	v_fma_f64 v[70:71], v[64:65], v[86:87], -v[70:71]
	v_mul_f64 v[64:65], v[64:65], v[88:89]
	buffer_store_dword v86, off, s[36:39], 0 offset:1460 ; 4-byte Folded Spill
	s_nop 0
	buffer_store_dword v87, off, s[36:39], 0 offset:1464 ; 4-byte Folded Spill
	buffer_store_dword v88, off, s[36:39], 0 offset:1468 ; 4-byte Folded Spill
	;; [unrolled: 1-line block ×3, first 2 shown]
	v_fma_f64 v[64:65], v[66:67], v[86:87], v[64:65]
	s_waitcnt vmcnt(4)
	v_mul_f64 v[66:67], v[62:63], v[96:97]
	v_fma_f64 v[66:67], v[60:61], v[94:95], -v[66:67]
	v_mul_f64 v[60:61], v[60:61], v[96:97]
	buffer_store_dword v94, off, s[36:39], 0 offset:1476 ; 4-byte Folded Spill
	s_nop 0
	buffer_store_dword v95, off, s[36:39], 0 offset:1480 ; 4-byte Folded Spill
	buffer_store_dword v96, off, s[36:39], 0 offset:1484 ; 4-byte Folded Spill
	buffer_store_dword v97, off, s[36:39], 0 offset:1488 ; 4-byte Folded Spill
	v_fma_f64 v[60:61], v[62:63], v[94:95], v[60:61]
	v_mul_f64 v[62:63], v[58:59], v[92:93]
	v_fma_f64 v[88:89], v[56:57], v[90:91], -v[62:63]
	v_mul_f64 v[56:57], v[56:57], v[92:93]
	buffer_store_dword v90, off, s[36:39], 0 offset:1444 ; 4-byte Folded Spill
	s_nop 0
	buffer_store_dword v91, off, s[36:39], 0 offset:1448 ; 4-byte Folded Spill
	buffer_store_dword v92, off, s[36:39], 0 offset:1452 ; 4-byte Folded Spill
	buffer_store_dword v93, off, s[36:39], 0 offset:1456 ; 4-byte Folded Spill
	v_fma_f64 v[58:59], v[58:59], v[90:91], v[56:57]
	;; [unrolled: 9-line block ×3, first 2 shown]
	buffer_load_dword v52, off, s[36:39], 0 offset:8 ; 4-byte Folded Reload
	s_waitcnt vmcnt(0)
	v_add_co_u32_e64 v54, s[2:3], s4, v52
	v_addc_co_u32_e64 v55, s[2:3], 0, v252, s[2:3]
	v_add_co_u32_e64 v52, s[2:3], s5, v54
	v_addc_co_u32_e64 v53, s[2:3], 0, v55, s[2:3]
	v_add_co_u32_e64 v54, s[2:3], s22, v54
	v_addc_co_u32_e64 v55, s[2:3], 0, v55, s[2:3]
	global_load_dwordx4 v[102:105], v[54:55], off offset:2112
	s_nop 0
	global_load_dwordx4 v[54:57], v[52:53], off offset:48
	global_load_dwordx4 v[80:83], v[52:53], off offset:32
	global_load_dwordx4 v[98:101], v[52:53], off offset:16
	s_waitcnt vmcnt(3) lgkmcnt(13)
	v_mul_f64 v[52:53], v[50:51], v[104:105]
	v_fma_f64 v[96:97], v[48:49], v[102:103], -v[52:53]
	v_mul_f64 v[48:49], v[48:49], v[104:105]
	buffer_store_dword v102, off, s[36:39], 0 offset:1540 ; 4-byte Folded Spill
	s_nop 0
	buffer_store_dword v103, off, s[36:39], 0 offset:1544 ; 4-byte Folded Spill
	buffer_store_dword v104, off, s[36:39], 0 offset:1548 ; 4-byte Folded Spill
	;; [unrolled: 1-line block ×3, first 2 shown]
	v_fma_f64 v[74:75], v[50:51], v[102:103], v[48:49]
	s_waitcnt vmcnt(4) lgkmcnt(12)
	v_mul_f64 v[48:49], v[46:47], v[100:101]
	v_fma_f64 v[124:125], v[44:45], v[98:99], -v[48:49]
	v_mul_f64 v[44:45], v[44:45], v[100:101]
	buffer_store_dword v98, off, s[36:39], 0 offset:1524 ; 4-byte Folded Spill
	s_nop 0
	buffer_store_dword v99, off, s[36:39], 0 offset:1528 ; 4-byte Folded Spill
	buffer_store_dword v100, off, s[36:39], 0 offset:1532 ; 4-byte Folded Spill
	;; [unrolled: 1-line block ×3, first 2 shown]
	v_fma_f64 v[78:79], v[46:47], v[98:99], v[44:45]
	s_waitcnt lgkmcnt(11)
	v_mul_f64 v[44:45], v[42:43], v[82:83]
	v_fma_f64 v[126:127], v[40:41], v[80:81], -v[44:45]
	v_mul_f64 v[40:41], v[40:41], v[82:83]
	buffer_store_dword v80, off, s[36:39], 0 offset:1508 ; 4-byte Folded Spill
	s_nop 0
	buffer_store_dword v81, off, s[36:39], 0 offset:1512 ; 4-byte Folded Spill
	buffer_store_dword v82, off, s[36:39], 0 offset:1516 ; 4-byte Folded Spill
	;; [unrolled: 1-line block ×3, first 2 shown]
	v_fma_f64 v[80:81], v[42:43], v[80:81], v[40:41]
	s_waitcnt lgkmcnt(10)
	v_mul_f64 v[40:41], v[38:39], v[56:57]
	v_fma_f64 v[152:153], v[36:37], v[54:55], -v[40:41]
	v_mul_f64 v[36:37], v[36:37], v[56:57]
	buffer_store_dword v54, off, s[36:39], 0 offset:1492 ; 4-byte Folded Spill
	s_nop 0
	buffer_store_dword v55, off, s[36:39], 0 offset:1496 ; 4-byte Folded Spill
	buffer_store_dword v56, off, s[36:39], 0 offset:1500 ; 4-byte Folded Spill
	;; [unrolled: 1-line block ×3, first 2 shown]
	v_add_f64 v[56:57], v[92:93], -v[88:89]
	v_fma_f64 v[82:83], v[38:39], v[54:55], v[36:37]
	buffer_load_dword v36, off, s[36:39], 0 offset:1556 ; 4-byte Folded Reload
	v_add_f64 v[54:55], v[60:61], -v[58:59]
	s_waitcnt vmcnt(0)
	v_lshlrev_b32_e32 v36, 4, v36
	v_add_co_u32_e64 v38, s[2:3], s4, v36
	v_addc_co_u32_e64 v39, s[2:3], 0, v252, s[2:3]
	v_add_co_u32_e64 v36, s[2:3], s5, v38
	v_addc_co_u32_e64 v37, s[2:3], 0, v39, s[2:3]
	;; [unrolled: 2-line block ×3, first 2 shown]
	global_load_dwordx4 v[50:53], v[38:39], off offset:2112
	s_nop 0
	global_load_dwordx4 v[38:41], v[36:37], off offset:48
	global_load_dwordx4 v[42:45], v[36:37], off offset:32
	;; [unrolled: 1-line block ×3, first 2 shown]
	s_waitcnt vmcnt(3) lgkmcnt(8)
	v_mul_f64 v[36:37], v[34:35], v[52:53]
	v_fma_f64 v[86:87], v[32:33], v[50:51], -v[36:37]
	v_mul_f64 v[32:33], v[32:33], v[52:53]
	buffer_store_dword v50, off, s[36:39], 0 offset:1604 ; 4-byte Folded Spill
	s_nop 0
	buffer_store_dword v51, off, s[36:39], 0 offset:1608 ; 4-byte Folded Spill
	buffer_store_dword v52, off, s[36:39], 0 offset:1612 ; 4-byte Folded Spill
	;; [unrolled: 1-line block ×3, first 2 shown]
	v_add_f64 v[36:37], v[158:159], -v[160:161]
	v_add_f64 v[52:53], v[72:73], -v[68:69]
	v_fma_f64 v[94:95], v[34:35], v[50:51], v[32:33]
	s_waitcnt vmcnt(4) lgkmcnt(7)
	v_mul_f64 v[32:33], v[30:31], v[48:49]
	v_add_f64 v[34:35], v[156:157], -v[154:155]
	v_add_f64 v[50:51], v[76:77], -v[84:85]
	v_fma_f64 v[90:91], v[28:29], v[46:47], -v[32:33]
	v_mul_f64 v[28:29], v[28:29], v[48:49]
	buffer_store_dword v46, off, s[36:39], 0 offset:1588 ; 4-byte Folded Spill
	s_nop 0
	buffer_store_dword v47, off, s[36:39], 0 offset:1592 ; 4-byte Folded Spill
	buffer_store_dword v48, off, s[36:39], 0 offset:1596 ; 4-byte Folded Spill
	;; [unrolled: 1-line block ×3, first 2 shown]
	v_add_f64 v[34:35], v[34:35], v[36:37]
	v_add_f64 v[36:37], v[162:163], -v[164:165]
	v_add_f64 v[48:49], v[68:69], -v[72:73]
	v_add_f64 v[50:51], v[50:51], v[52:53]
	v_add_f64 v[52:53], v[70:71], -v[66:67]
	v_add_f64 v[56:57], v[52:53], v[56:57]
	v_fma_f64 v[98:99], v[30:31], v[46:47], v[28:29]
	s_waitcnt lgkmcnt(6)
	v_mul_f64 v[28:29], v[26:27], v[44:45]
	v_add_f64 v[46:47], v[164:165], -v[166:167]
	v_fma_f64 v[120:121], v[24:25], v[42:43], -v[28:29]
	v_mul_f64 v[24:25], v[24:25], v[44:45]
	buffer_store_dword v42, off, s[36:39], 0 offset:1572 ; 4-byte Folded Spill
	s_nop 0
	buffer_store_dword v43, off, s[36:39], 0 offset:1576 ; 4-byte Folded Spill
	buffer_store_dword v44, off, s[36:39], 0 offset:1580 ; 4-byte Folded Spill
	;; [unrolled: 1-line block ×3, first 2 shown]
	v_add_f64 v[44:45], v[166:167], -v[168:169]
	v_fma_f64 v[116:117], v[26:27], v[42:43], v[24:25]
	s_waitcnt lgkmcnt(5)
	v_mul_f64 v[24:25], v[22:23], v[40:41]
	v_add_f64 v[42:43], v[164:165], -v[162:163]
	v_fma_f64 v[122:123], v[20:21], v[38:39], -v[24:25]
	v_mul_f64 v[20:21], v[20:21], v[40:41]
	buffer_store_dword v38, off, s[36:39], 0 offset:1556 ; 4-byte Folded Spill
	s_nop 0
	buffer_store_dword v39, off, s[36:39], 0 offset:1560 ; 4-byte Folded Spill
	buffer_store_dword v40, off, s[36:39], 0 offset:1564 ; 4-byte Folded Spill
	;; [unrolled: 1-line block ×3, first 2 shown]
	v_add_f64 v[40:41], v[168:169], -v[166:167]
	v_add_f64 v[42:43], v[42:43], v[44:45]
	v_add_f64 v[44:45], v[162:163], -v[168:169]
	v_add_f64 v[40:41], v[36:37], v[40:41]
	v_fma_f64 v[118:119], v[22:23], v[38:39], v[20:21]
	buffer_load_dword v20, off, s[36:39], 0 offset:12 ; 4-byte Folded Reload
	v_add_f64 v[38:39], v[76:77], -v[72:73]
	s_waitcnt vmcnt(0)
	v_add_co_u32_e64 v22, s[2:3], s4, v20
	v_addc_co_u32_e64 v23, s[2:3], 0, v252, s[2:3]
	v_add_co_u32_e64 v20, s[2:3], s5, v22
	v_addc_co_u32_e64 v21, s[2:3], 0, v23, s[2:3]
	;; [unrolled: 2-line block ×3, first 2 shown]
	global_load_dwordx4 v[196:199], v[22:23], off offset:2112
	s_nop 0
	global_load_dwordx4 v[22:25], v[20:21], off offset:48
	global_load_dwordx4 v[26:29], v[20:21], off offset:32
	;; [unrolled: 1-line block ×3, first 2 shown]
	s_mov_b32 s2, 0x4755a5e
	s_mov_b32 s3, 0x3fe2cf23
	;; [unrolled: 1-line block ×5, first 2 shown]
	s_waitcnt vmcnt(3) lgkmcnt(3)
	v_mul_f64 v[20:21], v[18:19], v[198:199]
	v_fma_f64 v[108:109], v[16:17], v[196:197], -v[20:21]
	v_mul_f64 v[16:17], v[16:17], v[198:199]
	v_add_f64 v[20:21], v[178:179], -v[180:181]
	v_fma_f64 v[100:101], v[18:19], v[196:197], v[16:17]
	s_waitcnt vmcnt(0) lgkmcnt(2)
	v_mul_f64 v[16:17], v[14:15], v[32:33]
	v_add_f64 v[18:19], v[176:177], -v[174:175]
	v_fma_f64 v[110:111], v[12:13], v[30:31], -v[16:17]
	v_mul_f64 v[12:13], v[12:13], v[32:33]
	buffer_store_dword v30, off, s[36:39], 0 offset:1652 ; 4-byte Folded Spill
	s_nop 0
	buffer_store_dword v31, off, s[36:39], 0 offset:1656 ; 4-byte Folded Spill
	buffer_store_dword v32, off, s[36:39], 0 offset:1660 ; 4-byte Folded Spill
	;; [unrolled: 1-line block ×3, first 2 shown]
	v_add_f64 v[16:17], v[170:171], -v[172:173]
	v_add_f64 v[32:33], v[160:161], -v[158:159]
	v_add_f64 v[16:17], v[16:17], v[18:19]
	v_add_f64 v[18:19], v[174:175], -v[176:177]
	v_fma_f64 v[102:103], v[14:15], v[30:31], v[12:13]
	s_waitcnt lgkmcnt(1)
	v_mul_f64 v[12:13], v[10:11], v[28:29]
	v_add_f64 v[14:15], v[190:191], -v[188:189]
	v_add_f64 v[30:31], v[180:181], -v[182:183]
	v_fma_f64 v[112:113], v[8:9], v[26:27], -v[12:13]
	v_mul_f64 v[8:9], v[8:9], v[28:29]
	buffer_store_dword v26, off, s[36:39], 0 offset:1636 ; 4-byte Folded Spill
	s_nop 0
	buffer_store_dword v27, off, s[36:39], 0 offset:1640 ; 4-byte Folded Spill
	buffer_store_dword v28, off, s[36:39], 0 offset:1644 ; 4-byte Folded Spill
	buffer_store_dword v29, off, s[36:39], 0 offset:1648 ; 4-byte Folded Spill
	v_add_f64 v[12:13], v[172:173], -v[174:175]
	v_add_f64 v[28:29], v[182:183], -v[184:185]
	v_fma_f64 v[104:105], v[10:11], v[26:27], v[8:9]
	s_waitcnt lgkmcnt(0)
	v_mul_f64 v[8:9], v[2:3], v[24:25]
	v_add_f64 v[10:11], v[170:171], -v[176:177]
	v_add_f64 v[26:27], v[180:181], -v[178:179]
	v_fma_f64 v[114:115], v[0:1], v[22:23], -v[8:9]
	v_mul_f64 v[0:1], v[0:1], v[24:25]
	buffer_store_dword v22, off, s[36:39], 0 offset:1620 ; 4-byte Folded Spill
	s_nop 0
	buffer_store_dword v23, off, s[36:39], 0 offset:1624 ; 4-byte Folded Spill
	buffer_store_dword v24, off, s[36:39], 0 offset:1628 ; 4-byte Folded Spill
	;; [unrolled: 1-line block ×3, first 2 shown]
	v_add_f64 v[8:9], v[186:187], -v[254:255]
	v_add_f64 v[24:25], v[184:185], -v[182:183]
	v_add_f64 v[26:27], v[26:27], v[28:29]
	v_add_f64 v[28:29], v[178:179], -v[184:185]
	v_add_f64 v[8:9], v[8:9], v[14:15]
	;; [unrolled: 2-line block ×3, first 2 shown]
	v_fma_f64 v[106:107], v[2:3], v[22:23], v[0:1]
	v_add_f64 v[0:1], v[4:5], v[186:187]
	v_add_f64 v[22:23], v[156:157], -v[158:159]
	v_add_f64 v[0:1], v[0:1], v[254:255]
	v_add_f64 v[0:1], v[0:1], v[188:189]
	;; [unrolled: 1-line block ×4, first 2 shown]
	v_fma_f64 v[2:3], v[0:1], -0.5, v[4:5]
	v_fma_f64 v[0:1], v[10:11], s[16:17], v[2:3]
	v_fma_f64 v[2:3], v[10:11], s[18:19], v[2:3]
	;; [unrolled: 1-line block ×6, first 2 shown]
	v_add_f64 v[2:3], v[186:187], v[190:191]
	v_add_f64 v[8:9], v[254:255], -v[186:187]
	v_fma_f64 v[2:3], v[2:3], -0.5, v[4:5]
	v_add_f64 v[14:15], v[8:9], v[14:15]
	v_fma_f64 v[4:5], v[12:13], s[18:19], v[2:3]
	v_fma_f64 v[2:3], v[12:13], s[16:17], v[2:3]
	v_add_f64 v[12:13], v[186:187], -v[190:191]
	v_fma_f64 v[4:5], v[10:11], s[2:3], v[4:5]
	v_fma_f64 v[2:3], v[10:11], s[20:21], v[2:3]
	;; [unrolled: 1-line block ×4, first 2 shown]
	v_add_f64 v[2:3], v[6:7], v[170:171]
	v_add_f64 v[14:15], v[254:255], -v[188:189]
	v_add_f64 v[2:3], v[2:3], v[172:173]
	v_add_f64 v[2:3], v[2:3], v[174:175]
	;; [unrolled: 1-line block ×4, first 2 shown]
	v_fma_f64 v[10:11], v[2:3], -0.5, v[6:7]
	v_fma_f64 v[2:3], v[12:13], s[18:19], v[10:11]
	v_fma_f64 v[10:11], v[12:13], s[16:17], v[10:11]
	;; [unrolled: 1-line block ×6, first 2 shown]
	v_add_f64 v[10:11], v[170:171], v[176:177]
	v_add_f64 v[16:17], v[172:173], -v[170:171]
	v_fma_f64 v[6:7], v[10:11], -0.5, v[6:7]
	v_add_f64 v[16:17], v[16:17], v[18:19]
	v_add_f64 v[18:19], v[154:155], -v[160:161]
	v_fma_f64 v[10:11], v[14:15], s[16:17], v[6:7]
	v_fma_f64 v[6:7], v[14:15], s[18:19], v[6:7]
	v_add_f64 v[14:15], v[180:181], v[182:183]
	v_fma_f64 v[10:11], v[12:13], s[20:21], v[10:11]
	v_fma_f64 v[6:7], v[12:13], s[2:3], v[6:7]
	v_fma_f64 v[14:15], v[14:15], -0.5, v[248:249]
	v_add_f64 v[12:13], v[248:249], v[178:179]
	v_fma_f64 v[10:11], v[16:17], s[4:5], v[10:11]
	v_fma_f64 v[6:7], v[16:17], s[4:5], v[6:7]
	;; [unrolled: 1-line block ×4, first 2 shown]
	v_add_f64 v[12:13], v[12:13], v[180:181]
	v_fma_f64 v[16:17], v[22:23], s[2:3], v[16:17]
	v_fma_f64 v[14:15], v[22:23], s[20:21], v[14:15]
	v_add_f64 v[12:13], v[12:13], v[182:183]
	v_fma_f64 v[20:21], v[24:25], s[4:5], v[16:17]
	v_fma_f64 v[16:17], v[24:25], s[4:5], v[14:15]
	v_add_f64 v[14:15], v[178:179], v[184:185]
	v_add_f64 v[12:13], v[12:13], v[184:185]
	v_fma_f64 v[14:15], v[14:15], -0.5, v[248:249]
	v_fma_f64 v[24:25], v[22:23], s[18:19], v[14:15]
	v_fma_f64 v[14:15], v[22:23], s[16:17], v[14:15]
	;; [unrolled: 1-line block ×4, first 2 shown]
	v_add_f64 v[18:19], v[156:157], v[158:159]
	v_fma_f64 v[24:25], v[26:27], s[4:5], v[24:25]
	v_fma_f64 v[248:249], v[26:27], s[4:5], v[14:15]
	v_fma_f64 v[18:19], v[18:19], -0.5, v[250:251]
	v_add_f64 v[26:27], v[154:155], -v[156:157]
	v_add_f64 v[14:15], v[250:251], v[154:155]
	v_fma_f64 v[22:23], v[28:29], s[18:19], v[18:19]
	v_fma_f64 v[18:19], v[28:29], s[16:17], v[18:19]
	v_add_f64 v[26:27], v[26:27], v[32:33]
	v_add_f64 v[14:15], v[14:15], v[156:157]
	v_fma_f64 v[22:23], v[30:31], s[20:21], v[22:23]
	v_fma_f64 v[18:19], v[30:31], s[2:3], v[18:19]
	v_add_f64 v[14:15], v[14:15], v[158:159]
	v_fma_f64 v[22:23], v[26:27], s[4:5], v[22:23]
	v_fma_f64 v[18:19], v[26:27], s[4:5], v[18:19]
	v_add_f64 v[26:27], v[154:155], v[160:161]
	v_add_f64 v[154:155], v[112:113], -v[114:115]
	v_add_f64 v[14:15], v[14:15], v[160:161]
	v_fma_f64 v[32:33], v[26:27], -0.5, v[250:251]
	v_fma_f64 v[26:27], v[30:31], s[16:17], v[32:33]
	v_fma_f64 v[30:31], v[30:31], s[18:19], v[32:33]
	;; [unrolled: 1-line block ×4, first 2 shown]
	v_add_f64 v[30:31], v[164:165], v[166:167]
	v_fma_f64 v[26:27], v[34:35], s[4:5], v[26:27]
	v_fma_f64 v[250:251], v[34:35], s[4:5], v[28:29]
	v_fma_f64 v[30:31], v[30:31], -0.5, v[236:237]
	v_add_f64 v[34:35], v[84:85], -v[68:69]
	v_add_f64 v[28:29], v[236:237], v[162:163]
	v_fma_f64 v[32:33], v[34:35], s[16:17], v[30:31]
	v_fma_f64 v[30:31], v[34:35], s[18:19], v[30:31]
	v_add_f64 v[28:29], v[28:29], v[164:165]
	v_fma_f64 v[32:33], v[38:39], s[2:3], v[32:33]
	v_fma_f64 v[30:31], v[38:39], s[20:21], v[30:31]
	;; [unrolled: 3-line block ×3, first 2 shown]
	v_add_f64 v[30:31], v[162:163], v[168:169]
	v_add_f64 v[28:29], v[28:29], v[168:169]
	v_fma_f64 v[30:31], v[30:31], -0.5, v[236:237]
	v_fma_f64 v[40:41], v[38:39], s[18:19], v[30:31]
	v_fma_f64 v[30:31], v[38:39], s[16:17], v[30:31]
	;; [unrolled: 1-line block ×4, first 2 shown]
	v_add_f64 v[34:35], v[76:77], v[72:73]
	v_fma_f64 v[40:41], v[42:43], s[4:5], v[40:41]
	v_fma_f64 v[236:237], v[42:43], s[4:5], v[30:31]
	v_fma_f64 v[34:35], v[34:35], -0.5, v[238:239]
	v_add_f64 v[42:43], v[84:85], -v[76:77]
	v_add_f64 v[30:31], v[238:239], v[84:85]
	v_fma_f64 v[38:39], v[44:45], s[18:19], v[34:35]
	v_fma_f64 v[34:35], v[44:45], s[16:17], v[34:35]
	v_add_f64 v[42:43], v[42:43], v[48:49]
	v_add_f64 v[30:31], v[30:31], v[76:77]
	v_add_f64 v[76:77], v[124:125], -v[96:97]
	v_fma_f64 v[38:39], v[46:47], s[20:21], v[38:39]
	v_fma_f64 v[34:35], v[46:47], s[2:3], v[34:35]
	v_add_f64 v[30:31], v[30:31], v[72:73]
	v_add_f64 v[72:73], v[88:89], -v[92:93]
	v_fma_f64 v[38:39], v[42:43], s[4:5], v[38:39]
	v_fma_f64 v[34:35], v[42:43], s[4:5], v[34:35]
	v_add_f64 v[42:43], v[84:85], v[68:69]
	v_add_f64 v[30:31], v[30:31], v[68:69]
	v_add_f64 v[68:69], v[66:67], -v[70:71]
	v_add_f64 v[84:85], v[126:127], -v[152:153]
	v_fma_f64 v[48:49], v[42:43], -0.5, v[238:239]
	v_add_f64 v[68:69], v[68:69], v[72:73]
	v_add_f64 v[72:73], v[62:63], -v[58:59]
	v_add_f64 v[84:85], v[76:77], v[84:85]
	v_fma_f64 v[42:43], v[46:47], s[16:17], v[48:49]
	v_fma_f64 v[46:47], v[46:47], s[18:19], v[48:49]
	v_fma_f64 v[42:43], v[44:45], s[20:21], v[42:43]
	v_fma_f64 v[44:45], v[44:45], s[2:3], v[46:47]
	v_add_f64 v[46:47], v[66:67], v[88:89]
	v_fma_f64 v[42:43], v[50:51], s[4:5], v[42:43]
	v_fma_f64 v[238:239], v[50:51], s[4:5], v[44:45]
	v_fma_f64 v[46:47], v[46:47], -0.5, v[216:217]
	v_add_f64 v[50:51], v[64:65], -v[62:63]
	v_add_f64 v[44:45], v[216:217], v[70:71]
	v_fma_f64 v[48:49], v[50:51], s[16:17], v[46:47]
	v_fma_f64 v[46:47], v[50:51], s[18:19], v[46:47]
	v_add_f64 v[44:45], v[44:45], v[66:67]
	v_add_f64 v[66:67], v[66:67], -v[88:89]
	v_fma_f64 v[48:49], v[54:55], s[2:3], v[48:49]
	v_fma_f64 v[46:47], v[54:55], s[20:21], v[46:47]
	v_add_f64 v[44:45], v[44:45], v[88:89]
	v_add_f64 v[88:89], v[124:125], -v[126:127]
	v_fma_f64 v[52:53], v[56:57], s[4:5], v[48:49]
	v_fma_f64 v[48:49], v[56:57], s[4:5], v[46:47]
	v_add_f64 v[46:47], v[70:71], v[92:93]
	v_add_f64 v[44:45], v[44:45], v[92:93]
	v_fma_f64 v[46:47], v[46:47], -0.5, v[216:217]
	v_fma_f64 v[56:57], v[54:55], s[18:19], v[46:47]
	v_fma_f64 v[46:47], v[54:55], s[16:17], v[46:47]
	;; [unrolled: 1-line block ×4, first 2 shown]
	v_add_f64 v[50:51], v[60:61], v[58:59]
	v_fma_f64 v[56:57], v[68:69], s[4:5], v[56:57]
	v_fma_f64 v[216:217], v[68:69], s[4:5], v[46:47]
	v_fma_f64 v[50:51], v[50:51], -0.5, v[218:219]
	v_add_f64 v[68:69], v[70:71], -v[92:93]
	v_add_f64 v[70:71], v[64:65], -v[60:61]
	v_add_f64 v[46:47], v[218:219], v[64:65]
	v_add_f64 v[92:93], v[74:75], -v[78:79]
	v_fma_f64 v[54:55], v[68:69], s[18:19], v[50:51]
	v_fma_f64 v[50:51], v[68:69], s[16:17], v[50:51]
	v_add_f64 v[70:71], v[70:71], v[72:73]
	v_add_f64 v[46:47], v[46:47], v[60:61]
	v_add_f64 v[60:61], v[60:61], -v[64:65]
	v_fma_f64 v[54:55], v[66:67], s[20:21], v[54:55]
	v_fma_f64 v[50:51], v[66:67], s[2:3], v[50:51]
	v_add_f64 v[46:47], v[46:47], v[58:59]
	v_add_f64 v[58:59], v[58:59], -v[62:63]
	v_fma_f64 v[54:55], v[70:71], s[4:5], v[54:55]
	v_fma_f64 v[50:51], v[70:71], s[4:5], v[50:51]
	v_add_f64 v[70:71], v[64:65], v[62:63]
	v_add_f64 v[46:47], v[46:47], v[62:63]
	;; [unrolled: 1-line block ×3, first 2 shown]
	v_fma_f64 v[70:71], v[70:71], -0.5, v[218:219]
	v_fma_f64 v[62:63], v[66:67], s[18:19], v[70:71]
	v_fma_f64 v[72:73], v[66:67], s[16:17], v[70:71]
	v_add_f64 v[66:67], v[74:75], -v[82:83]
	v_add_f64 v[70:71], v[78:79], -v[80:81]
	v_fma_f64 v[62:63], v[68:69], s[2:3], v[62:63]
	v_fma_f64 v[72:73], v[68:69], s[20:21], v[72:73]
	v_add_f64 v[68:69], v[96:97], -v[124:125]
	v_fma_f64 v[218:219], v[60:61], s[4:5], v[62:63]
	v_add_f64 v[62:63], v[124:125], v[126:127]
	v_fma_f64 v[58:59], v[60:61], s[4:5], v[72:73]
	v_add_f64 v[72:73], v[152:153], -v[126:127]
	v_add_f64 v[60:61], v[212:213], v[96:97]
	v_fma_f64 v[62:63], v[62:63], -0.5, v[212:213]
	v_add_f64 v[72:73], v[68:69], v[72:73]
	v_add_f64 v[60:61], v[60:61], v[124:125]
	v_add_f64 v[124:125], v[98:99], -v[116:117]
	v_fma_f64 v[64:65], v[66:67], s[16:17], v[62:63]
	v_fma_f64 v[62:63], v[66:67], s[18:19], v[62:63]
	v_add_f64 v[60:61], v[60:61], v[126:127]
	v_add_f64 v[126:127], v[90:91], -v[86:87]
	v_fma_f64 v[64:65], v[70:71], s[2:3], v[64:65]
	v_fma_f64 v[62:63], v[70:71], s[20:21], v[62:63]
	v_add_f64 v[60:61], v[60:61], v[152:153]
	v_fma_f64 v[68:69], v[72:73], s[4:5], v[64:65]
	v_fma_f64 v[64:65], v[72:73], s[4:5], v[62:63]
	v_add_f64 v[62:63], v[96:97], v[152:153]
	v_fma_f64 v[62:63], v[62:63], -0.5, v[212:213]
	v_fma_f64 v[72:73], v[70:71], s[18:19], v[62:63]
	v_fma_f64 v[62:63], v[70:71], s[16:17], v[62:63]
	;; [unrolled: 1-line block ×4, first 2 shown]
	v_add_f64 v[66:67], v[78:79], v[80:81]
	v_fma_f64 v[76:77], v[84:85], s[4:5], v[72:73]
	v_fma_f64 v[72:73], v[84:85], s[4:5], v[62:63]
	v_fma_f64 v[66:67], v[66:67], -0.5, v[214:215]
	v_add_f64 v[84:85], v[96:97], -v[152:153]
	v_add_f64 v[96:97], v[82:83], -v[80:81]
	v_add_f64 v[62:63], v[214:215], v[74:75]
	v_add_f64 v[152:153], v[120:121], -v[122:123]
	v_fma_f64 v[70:71], v[84:85], s[18:19], v[66:67]
	v_fma_f64 v[66:67], v[84:85], s[16:17], v[66:67]
	v_add_f64 v[92:93], v[92:93], v[96:97]
	v_add_f64 v[62:63], v[62:63], v[78:79]
	v_add_f64 v[126:127], v[126:127], v[152:153]
	v_add_f64 v[152:153], v[114:115], -v[112:113]
	v_fma_f64 v[70:71], v[88:89], s[20:21], v[70:71]
	v_fma_f64 v[66:67], v[88:89], s[2:3], v[66:67]
	v_add_f64 v[62:63], v[62:63], v[80:81]
	v_fma_f64 v[70:71], v[92:93], s[4:5], v[70:71]
	v_fma_f64 v[66:67], v[92:93], s[4:5], v[66:67]
	v_add_f64 v[92:93], v[74:75], v[82:83]
	v_add_f64 v[62:63], v[62:63], v[82:83]
	v_add_f64 v[74:75], v[78:79], -v[74:75]
	v_add_f64 v[78:79], v[80:81], -v[82:83]
	v_add_f64 v[82:83], v[90:91], v[120:121]
	v_fma_f64 v[92:93], v[92:93], -0.5, v[214:215]
	v_add_f64 v[74:75], v[74:75], v[78:79]
	v_fma_f64 v[82:83], v[82:83], -0.5, v[208:209]
	v_fma_f64 v[96:97], v[88:89], s[16:17], v[92:93]
	v_fma_f64 v[80:81], v[88:89], s[18:19], v[92:93]
	v_add_f64 v[92:93], v[94:95], -v[118:119]
	v_add_f64 v[88:89], v[86:87], -v[90:91]
	v_fma_f64 v[96:97], v[84:85], s[20:21], v[96:97]
	v_fma_f64 v[80:81], v[84:85], s[2:3], v[80:81]
	;; [unrolled: 1-line block ×5, first 2 shown]
	v_add_f64 v[96:97], v[122:123], -v[120:121]
	v_fma_f64 v[84:85], v[124:125], s[2:3], v[84:85]
	v_fma_f64 v[82:83], v[124:125], s[20:21], v[82:83]
	;; [unrolled: 1-line block ×3, first 2 shown]
	v_add_f64 v[80:81], v[208:209], v[86:87]
	v_add_f64 v[96:97], v[88:89], v[96:97]
	v_add_f64 v[80:81], v[80:81], v[90:91]
	v_fma_f64 v[88:89], v[96:97], s[4:5], v[84:85]
	v_fma_f64 v[84:85], v[96:97], s[4:5], v[82:83]
	v_add_f64 v[82:83], v[86:87], v[122:123]
	v_add_f64 v[80:81], v[80:81], v[120:121]
	v_add_f64 v[120:121], v[90:91], -v[120:121]
	v_add_f64 v[90:91], v[94:95], -v[98:99]
	v_fma_f64 v[82:83], v[82:83], -0.5, v[208:209]
	v_add_f64 v[80:81], v[80:81], v[122:123]
	v_add_f64 v[122:123], v[86:87], -v[122:123]
	v_fma_f64 v[96:97], v[124:125], s[18:19], v[82:83]
	v_fma_f64 v[82:83], v[124:125], s[16:17], v[82:83]
	v_add_f64 v[124:125], v[98:99], v[116:117]
	v_fma_f64 v[96:97], v[92:93], s[2:3], v[96:97]
	v_fma_f64 v[82:83], v[92:93], s[20:21], v[82:83]
	v_fma_f64 v[124:125], v[124:125], -0.5, v[210:211]
	v_fma_f64 v[96:97], v[126:127], s[4:5], v[96:97]
	v_fma_f64 v[92:93], v[126:127], s[4:5], v[82:83]
	v_fma_f64 v[86:87], v[122:123], s[18:19], v[124:125]
	v_add_f64 v[126:127], v[118:119], -v[116:117]
	v_add_f64 v[82:83], v[210:211], v[94:95]
	v_fma_f64 v[86:87], v[120:121], s[20:21], v[86:87]
	v_add_f64 v[126:127], v[90:91], v[126:127]
	v_add_f64 v[82:83], v[82:83], v[98:99]
	v_fma_f64 v[90:91], v[126:127], s[4:5], v[86:87]
	v_fma_f64 v[86:87], v[122:123], s[16:17], v[124:125]
	v_add_f64 v[124:125], v[94:95], v[118:119]
	v_add_f64 v[82:83], v[82:83], v[116:117]
	v_add_f64 v[94:95], v[98:99], -v[94:95]
	v_add_f64 v[98:99], v[116:117], -v[118:119]
	v_fma_f64 v[86:87], v[120:121], s[2:3], v[86:87]
	v_fma_f64 v[124:125], v[124:125], -0.5, v[210:211]
	v_add_f64 v[82:83], v[82:83], v[118:119]
	v_add_f64 v[118:119], v[110:111], v[112:113]
	;; [unrolled: 1-line block ×3, first 2 shown]
	v_fma_f64 v[86:87], v[126:127], s[4:5], v[86:87]
	v_fma_f64 v[126:127], v[120:121], s[16:17], v[124:125]
	;; [unrolled: 1-line block ×3, first 2 shown]
	v_fma_f64 v[118:119], v[118:119], -0.5, v[204:205]
	v_add_f64 v[124:125], v[102:103], -v[104:105]
	v_fma_f64 v[126:127], v[122:123], s[20:21], v[126:127]
	v_fma_f64 v[116:117], v[122:123], s[2:3], v[116:117]
	v_add_f64 v[122:123], v[100:101], -v[106:107]
	v_fma_f64 v[98:99], v[94:95], s[4:5], v[126:127]
	v_add_f64 v[126:127], v[108:109], -v[110:111]
	v_fma_f64 v[120:121], v[122:123], s[16:17], v[118:119]
	v_fma_f64 v[118:119], v[122:123], s[18:19], v[118:119]
	v_fma_f64 v[94:95], v[94:95], s[4:5], v[116:117]
	v_add_f64 v[116:117], v[204:205], v[108:109]
	v_add_f64 v[126:127], v[126:127], v[152:153]
	v_fma_f64 v[120:121], v[124:125], s[2:3], v[120:121]
	v_fma_f64 v[118:119], v[124:125], s[20:21], v[118:119]
	v_add_f64 v[152:153], v[110:111], -v[108:109]
	v_add_f64 v[116:117], v[116:117], v[110:111]
	v_add_f64 v[110:111], v[110:111], -v[112:113]
	v_fma_f64 v[120:121], v[126:127], s[4:5], v[120:121]
	v_fma_f64 v[212:213], v[126:127], s[4:5], v[118:119]
	v_add_f64 v[118:119], v[108:109], v[114:115]
	v_add_f64 v[116:117], v[116:117], v[112:113]
	v_add_f64 v[108:109], v[108:109], -v[114:115]
	v_add_f64 v[152:153], v[152:153], v[154:155]
	v_fma_f64 v[118:119], v[118:119], -0.5, v[204:205]
	v_add_f64 v[116:117], v[116:117], v[114:115]
	v_fma_f64 v[126:127], v[124:125], s[18:19], v[118:119]
	v_fma_f64 v[118:119], v[124:125], s[16:17], v[118:119]
	;; [unrolled: 1-line block ×4, first 2 shown]
	v_add_f64 v[122:123], v[102:103], v[104:105]
	v_fma_f64 v[204:205], v[152:153], s[4:5], v[126:127]
	v_fma_f64 v[208:209], v[152:153], s[4:5], v[118:119]
	v_fma_f64 v[124:125], v[122:123], -0.5, v[206:207]
	v_add_f64 v[122:123], v[106:107], -v[104:105]
	v_add_f64 v[118:119], v[206:207], v[100:101]
	v_fma_f64 v[114:115], v[108:109], s[18:19], v[124:125]
	v_add_f64 v[118:119], v[118:119], v[102:103]
	v_fma_f64 v[112:113], v[110:111], s[20:21], v[114:115]
	v_add_f64 v[114:115], v[100:101], -v[102:103]
	v_add_f64 v[118:119], v[118:119], v[104:105]
	v_add_f64 v[114:115], v[114:115], v[122:123]
	;; [unrolled: 1-line block ×3, first 2 shown]
	v_fma_f64 v[122:123], v[114:115], s[4:5], v[112:113]
	v_fma_f64 v[112:113], v[108:109], s[16:17], v[124:125]
	;; [unrolled: 1-line block ×4, first 2 shown]
	v_add_f64 v[112:113], v[100:101], v[106:107]
	v_add_f64 v[100:101], v[102:103], -v[100:101]
	v_add_f64 v[102:103], v[104:105], -v[106:107]
	v_fma_f64 v[112:113], v[112:113], -0.5, v[206:207]
	v_add_f64 v[100:101], v[100:101], v[102:103]
	v_fma_f64 v[114:115], v[110:111], s[16:17], v[112:113]
	v_fma_f64 v[102:103], v[110:111], s[18:19], v[112:113]
	;; [unrolled: 1-line block ×6, first 2 shown]
	ds_write_b128 v192, v[200:203]
	ds_write_b128 v192, v[0:3] offset:6272
	ds_write_b128 v192, v[8:11] offset:12544
	;; [unrolled: 1-line block ×34, first 2 shown]
	v_lshlrev_b32_e32 v26, 4, v193
	v_add_co_u32_e64 v14, s[2:3], s12, v26
	v_mov_b32_e32 v4, s13
	s_waitcnt lgkmcnt(0)
	; wave barrier
	s_waitcnt lgkmcnt(0)
	v_addc_co_u32_e64 v15, s[2:3], 0, v4, s[2:3]
	global_load_dwordx4 v[4:7], v26, s[12:13]
	ds_read_b128 v[0:3], v192
	s_waitcnt vmcnt(0) lgkmcnt(0)
	v_mul_f64 v[8:9], v[2:3], v[6:7]
	v_fma_f64 v[8:9], v[0:1], v[4:5], -v[8:9]
	v_mul_f64 v[0:1], v[0:1], v[6:7]
	v_fma_f64 v[10:11], v[2:3], v[4:5], v[0:1]
	ds_read_b128 v[0:3], v192 offset:7840
	ds_write_b128 v192, v[8:11]
	v_add_co_u32_e64 v8, s[2:3], s22, v14
	v_addc_co_u32_e64 v9, s[2:3], 0, v15, s[2:3]
	global_load_dwordx4 v[4:7], v[8:9], off offset:3744
	s_movk_i32 s2, 0x3000
	s_waitcnt vmcnt(0) lgkmcnt(1)
	v_mul_f64 v[10:11], v[2:3], v[6:7]
	v_fma_f64 v[10:11], v[0:1], v[4:5], -v[10:11]
	v_mul_f64 v[0:1], v[0:1], v[6:7]
	v_add_co_u32_e64 v6, s[2:3], s2, v14
	v_addc_co_u32_e64 v7, s[2:3], 0, v15, s[2:3]
	s_movk_i32 s2, 0x5000
	v_fma_f64 v[12:13], v[2:3], v[4:5], v[0:1]
	ds_read_b128 v[0:3], v192 offset:15680
	ds_write_b128 v192, v[10:13] offset:7840
	global_load_dwordx4 v[10:13], v[6:7], off offset:3392
	s_waitcnt vmcnt(0) lgkmcnt(1)
	v_mul_f64 v[4:5], v[2:3], v[12:13]
	v_fma_f64 v[16:17], v[0:1], v[10:11], -v[4:5]
	v_mul_f64 v[0:1], v[0:1], v[12:13]
	v_add_co_u32_e64 v4, s[2:3], s2, v14
	v_addc_co_u32_e64 v5, s[2:3], 0, v15, s[2:3]
	s_movk_i32 s2, 0x2000
	v_add_co_u32_e64 v24, s[2:3], s2, v14
	v_fma_f64 v[18:19], v[2:3], v[10:11], v[0:1]
	global_load_dwordx4 v[10:13], v[4:5], off offset:3040
	ds_read_b128 v[0:3], v192 offset:23520
	v_addc_co_u32_e64 v25, s[2:3], 0, v15, s[2:3]
	s_movk_i32 s2, 0x4000
	ds_write_b128 v192, v[16:19] offset:15680
	s_waitcnt vmcnt(0) lgkmcnt(1)
	v_mul_f64 v[16:17], v[2:3], v[12:13]
	v_fma_f64 v[16:17], v[0:1], v[10:11], -v[16:17]
	v_mul_f64 v[0:1], v[0:1], v[12:13]
	v_fma_f64 v[18:19], v[2:3], v[10:11], v[0:1]
	global_load_dwordx4 v[10:13], v26, s[12:13] offset:896
	ds_read_b128 v[0:3], v192 offset:896
	ds_write_b128 v192, v[16:19] offset:23520
	s_waitcnt vmcnt(0) lgkmcnt(1)
	v_mul_f64 v[16:17], v[2:3], v[12:13]
	v_fma_f64 v[16:17], v[0:1], v[10:11], -v[16:17]
	v_mul_f64 v[0:1], v[0:1], v[12:13]
	v_fma_f64 v[18:19], v[2:3], v[10:11], v[0:1]
	global_load_dwordx4 v[10:13], v[24:25], off offset:544
	ds_read_b128 v[0:3], v192 offset:8736
	ds_write_b128 v192, v[16:19] offset:896
	s_waitcnt vmcnt(0) lgkmcnt(1)
	v_mul_f64 v[16:17], v[2:3], v[12:13]
	v_fma_f64 v[16:17], v[0:1], v[10:11], -v[16:17]
	v_mul_f64 v[0:1], v[0:1], v[12:13]
	v_fma_f64 v[18:19], v[2:3], v[10:11], v[0:1]
	v_add_co_u32_e64 v10, s[2:3], s2, v14
	v_addc_co_u32_e64 v11, s[2:3], 0, v15, s[2:3]
	ds_read_b128 v[0:3], v192 offset:16576
	s_movk_i32 s2, 0x6000
	ds_write_b128 v192, v[16:19] offset:8736
	global_load_dwordx4 v[16:19], v[10:11], off offset:192
	s_waitcnt vmcnt(0) lgkmcnt(1)
	v_mul_f64 v[12:13], v[2:3], v[18:19]
	v_fma_f64 v[20:21], v[0:1], v[16:17], -v[12:13]
	v_mul_f64 v[0:1], v[0:1], v[18:19]
	v_fma_f64 v[22:23], v[2:3], v[16:17], v[0:1]
	global_load_dwordx4 v[16:19], v[4:5], off offset:3936
	ds_read_b128 v[0:3], v192 offset:24416
	ds_write_b128 v192, v[20:23] offset:16576
	s_waitcnt vmcnt(0) lgkmcnt(1)
	v_mul_f64 v[12:13], v[2:3], v[18:19]
	v_fma_f64 v[20:21], v[0:1], v[16:17], -v[12:13]
	v_mul_f64 v[0:1], v[0:1], v[18:19]
	v_fma_f64 v[22:23], v[2:3], v[16:17], v[0:1]
	global_load_dwordx4 v[16:19], v26, s[12:13] offset:1792
	ds_read_b128 v[0:3], v192 offset:1792
	ds_write_b128 v192, v[20:23] offset:24416
	s_waitcnt vmcnt(0) lgkmcnt(1)
	v_mul_f64 v[12:13], v[2:3], v[18:19]
	v_fma_f64 v[20:21], v[0:1], v[16:17], -v[12:13]
	v_mul_f64 v[0:1], v[0:1], v[18:19]
	v_fma_f64 v[22:23], v[2:3], v[16:17], v[0:1]
	global_load_dwordx4 v[16:19], v[24:25], off offset:1440
	ds_read_b128 v[0:3], v192 offset:9632
	ds_write_b128 v192, v[20:23] offset:1792
	s_waitcnt vmcnt(0) lgkmcnt(1)
	v_mul_f64 v[12:13], v[2:3], v[18:19]
	v_fma_f64 v[20:21], v[0:1], v[16:17], -v[12:13]
	v_mul_f64 v[0:1], v[0:1], v[18:19]
	v_fma_f64 v[22:23], v[2:3], v[16:17], v[0:1]
	global_load_dwordx4 v[16:19], v[10:11], off offset:1088
	ds_read_b128 v[0:3], v192 offset:17472
	ds_write_b128 v192, v[20:23] offset:9632
	s_waitcnt vmcnt(0) lgkmcnt(1)
	v_mul_f64 v[12:13], v[2:3], v[18:19]
	v_fma_f64 v[20:21], v[0:1], v[16:17], -v[12:13]
	v_mul_f64 v[0:1], v[0:1], v[18:19]
	v_add_co_u32_e64 v12, s[2:3], s2, v14
	v_addc_co_u32_e64 v13, s[2:3], 0, v15, s[2:3]
	s_movk_i32 s2, 0x7000
	v_fma_f64 v[22:23], v[2:3], v[16:17], v[0:1]
	global_load_dwordx4 v[16:19], v[12:13], off offset:736
	ds_read_b128 v[0:3], v192 offset:25312
	ds_write_b128 v192, v[20:23] offset:17472
	s_waitcnt vmcnt(0) lgkmcnt(1)
	v_mul_f64 v[20:21], v[2:3], v[18:19]
	v_fma_f64 v[20:21], v[0:1], v[16:17], -v[20:21]
	v_mul_f64 v[0:1], v[0:1], v[18:19]
	v_fma_f64 v[22:23], v[2:3], v[16:17], v[0:1]
	global_load_dwordx4 v[16:19], v26, s[12:13] offset:2688
	ds_read_b128 v[0:3], v192 offset:2688
	ds_write_b128 v192, v[20:23] offset:25312
	s_waitcnt vmcnt(0) lgkmcnt(1)
	v_mul_f64 v[20:21], v[2:3], v[18:19]
	v_fma_f64 v[20:21], v[0:1], v[16:17], -v[20:21]
	v_mul_f64 v[0:1], v[0:1], v[18:19]
	v_fma_f64 v[22:23], v[2:3], v[16:17], v[0:1]
	global_load_dwordx4 v[16:19], v[24:25], off offset:2336
	ds_read_b128 v[0:3], v192 offset:10528
	ds_write_b128 v192, v[20:23] offset:2688
	s_waitcnt vmcnt(0) lgkmcnt(1)
	v_mul_f64 v[20:21], v[2:3], v[18:19]
	v_fma_f64 v[20:21], v[0:1], v[16:17], -v[20:21]
	v_mul_f64 v[0:1], v[0:1], v[18:19]
	v_fma_f64 v[22:23], v[2:3], v[16:17], v[0:1]
	global_load_dwordx4 v[16:19], v[10:11], off offset:1984
	;; [unrolled: 8-line block ×3, first 2 shown]
	ds_read_b128 v[0:3], v192 offset:26208
	ds_write_b128 v192, v[20:23] offset:18368
	s_waitcnt vmcnt(0) lgkmcnt(1)
	v_mul_f64 v[20:21], v[2:3], v[18:19]
	v_fma_f64 v[20:21], v[0:1], v[16:17], -v[20:21]
	v_mul_f64 v[0:1], v[0:1], v[18:19]
	v_fma_f64 v[22:23], v[2:3], v[16:17], v[0:1]
	global_load_dwordx4 v[16:19], v26, s[12:13] offset:3584
	ds_read_b128 v[0:3], v192 offset:3584
	ds_write_b128 v192, v[20:23] offset:26208
	s_waitcnt vmcnt(0) lgkmcnt(1)
	v_mul_f64 v[20:21], v[2:3], v[18:19]
	v_fma_f64 v[20:21], v[0:1], v[16:17], -v[20:21]
	v_mul_f64 v[0:1], v[0:1], v[18:19]
	v_fma_f64 v[22:23], v[2:3], v[16:17], v[0:1]
	global_load_dwordx4 v[16:19], v[24:25], off offset:3232
	ds_read_b128 v[0:3], v192 offset:11424
	ds_write_b128 v192, v[20:23] offset:3584
	s_waitcnt vmcnt(0) lgkmcnt(1)
	v_mul_f64 v[20:21], v[2:3], v[18:19]
	v_fma_f64 v[20:21], v[0:1], v[16:17], -v[20:21]
	v_mul_f64 v[0:1], v[0:1], v[18:19]
	v_fma_f64 v[22:23], v[2:3], v[16:17], v[0:1]
	global_load_dwordx4 v[16:19], v[10:11], off offset:2880
	;; [unrolled: 8-line block ×6, first 2 shown]
	ds_read_b128 v[0:3], v192 offset:20160
	ds_write_b128 v192, v[20:23] offset:12320
	s_waitcnt vmcnt(0) lgkmcnt(1)
	v_mul_f64 v[10:11], v[2:3], v[18:19]
	v_fma_f64 v[20:21], v[0:1], v[16:17], -v[10:11]
	global_load_dwordx4 v[10:13], v[12:13], off offset:3424
	v_mul_f64 v[0:1], v[0:1], v[18:19]
	v_fma_f64 v[22:23], v[2:3], v[16:17], v[0:1]
	ds_read_b128 v[0:3], v192 offset:28000
	ds_write_b128 v192, v[20:23] offset:20160
	s_waitcnt vmcnt(0) lgkmcnt(1)
	v_mul_f64 v[16:17], v[2:3], v[12:13]
	v_fma_f64 v[16:17], v[0:1], v[10:11], -v[16:17]
	v_mul_f64 v[0:1], v[0:1], v[12:13]
	v_fma_f64 v[18:19], v[2:3], v[10:11], v[0:1]
	global_load_dwordx4 v[10:13], v[8:9], off offset:1280
	ds_read_b128 v[0:3], v192 offset:5376
	ds_write_b128 v192, v[16:19] offset:28000
	s_waitcnt vmcnt(0) lgkmcnt(1)
	v_mul_f64 v[16:17], v[2:3], v[12:13]
	v_fma_f64 v[16:17], v[0:1], v[10:11], -v[16:17]
	v_mul_f64 v[0:1], v[0:1], v[12:13]
	v_fma_f64 v[18:19], v[2:3], v[10:11], v[0:1]
	global_load_dwordx4 v[10:13], v[6:7], off offset:928
	;; [unrolled: 8-line block ×3, first 2 shown]
	ds_read_b128 v[0:3], v192 offset:21056
	ds_write_b128 v192, v[16:19] offset:13216
	s_waitcnt vmcnt(0) lgkmcnt(1)
	v_mul_f64 v[16:17], v[2:3], v[12:13]
	v_fma_f64 v[16:17], v[0:1], v[10:11], -v[16:17]
	v_mul_f64 v[0:1], v[0:1], v[12:13]
	v_fma_f64 v[18:19], v[2:3], v[10:11], v[0:1]
	v_add_co_u32_e64 v0, s[2:3], s2, v14
	v_addc_co_u32_e64 v1, s[2:3], 0, v15, s[2:3]
	ds_read_b128 v[10:13], v192 offset:28896
	ds_write_b128 v192, v[16:19] offset:21056
	global_load_dwordx4 v[14:17], v[0:1], off offset:224
	s_waitcnt vmcnt(0) lgkmcnt(1)
	v_mul_f64 v[2:3], v[12:13], v[16:17]
	v_fma_f64 v[18:19], v[10:11], v[14:15], -v[2:3]
	v_mul_f64 v[2:3], v[10:11], v[16:17]
	v_fma_f64 v[20:21], v[12:13], v[14:15], v[2:3]
	global_load_dwordx4 v[14:17], v[8:9], off offset:2176
	ds_read_b128 v[10:13], v192 offset:6272
	ds_write_b128 v192, v[18:21] offset:28896
	s_waitcnt vmcnt(0) lgkmcnt(1)
	v_mul_f64 v[2:3], v[12:13], v[16:17]
	v_fma_f64 v[8:9], v[10:11], v[14:15], -v[2:3]
	v_mul_f64 v[2:3], v[10:11], v[16:17]
	v_fma_f64 v[10:11], v[12:13], v[14:15], v[2:3]
	global_load_dwordx4 v[12:15], v[6:7], off offset:1824
	ds_write_b128 v192, v[8:11] offset:6272
	ds_read_b128 v[8:11], v192 offset:14112
	s_waitcnt vmcnt(0) lgkmcnt(0)
	v_mul_f64 v[2:3], v[10:11], v[14:15]
	v_fma_f64 v[16:17], v[8:9], v[12:13], -v[2:3]
	v_mul_f64 v[2:3], v[8:9], v[14:15]
	v_fma_f64 v[18:19], v[10:11], v[12:13], v[2:3]
	global_load_dwordx4 v[12:15], v[4:5], off offset:1472
	ds_read_b128 v[8:11], v192 offset:21952
	ds_write_b128 v192, v[16:19] offset:14112
	s_waitcnt vmcnt(0) lgkmcnt(1)
	v_mul_f64 v[2:3], v[10:11], v[14:15]
	v_fma_f64 v[16:17], v[8:9], v[12:13], -v[2:3]
	v_mul_f64 v[2:3], v[8:9], v[14:15]
	v_fma_f64 v[18:19], v[10:11], v[12:13], v[2:3]
	global_load_dwordx4 v[12:15], v[0:1], off offset:1120
	ds_read_b128 v[8:11], v192 offset:29792
	ds_write_b128 v192, v[16:19] offset:21952
	s_waitcnt vmcnt(0) lgkmcnt(1)
	v_mul_f64 v[2:3], v[10:11], v[14:15]
	v_fma_f64 v[16:17], v[8:9], v[12:13], -v[2:3]
	v_mul_f64 v[2:3], v[8:9], v[14:15]
	v_fma_f64 v[18:19], v[10:11], v[12:13], v[2:3]
	ds_write_b128 v192, v[16:19] offset:29792
	s_and_saveexec_b64 s[2:3], vcc
	s_cbranch_execz .LBB0_13
; %bb.12:
	buffer_load_dword v2, off, s[36:39], 0 offset:32 ; 4-byte Folded Reload
	ds_read_b128 v[8:11], v192 offset:7168
	s_waitcnt vmcnt(0)
	global_load_dwordx4 v[12:15], v2, s[12:13]
	s_waitcnt vmcnt(0) lgkmcnt(0)
	v_mul_f64 v[2:3], v[10:11], v[14:15]
	v_fma_f64 v[16:17], v[8:9], v[12:13], -v[2:3]
	v_mul_f64 v[2:3], v[8:9], v[14:15]
	v_fma_f64 v[18:19], v[10:11], v[12:13], v[2:3]
	global_load_dwordx4 v[12:15], v[6:7], off offset:2720
	ds_read_b128 v[8:11], v192 offset:15008
	ds_write_b128 v192, v[16:19] offset:7168
	s_waitcnt vmcnt(0) lgkmcnt(1)
	v_mul_f64 v[2:3], v[10:11], v[14:15]
	v_fma_f64 v[6:7], v[8:9], v[12:13], -v[2:3]
	v_mul_f64 v[2:3], v[8:9], v[14:15]
	v_fma_f64 v[8:9], v[10:11], v[12:13], v[2:3]
	global_load_dwordx4 v[2:5], v[4:5], off offset:2368
	ds_write_b128 v192, v[6:9] offset:15008
	ds_read_b128 v[6:9], v192 offset:22848
	s_waitcnt vmcnt(0) lgkmcnt(0)
	v_mul_f64 v[10:11], v[8:9], v[4:5]
	v_mul_f64 v[4:5], v[6:7], v[4:5]
	v_fma_f64 v[10:11], v[6:7], v[2:3], -v[10:11]
	v_fma_f64 v[12:13], v[8:9], v[2:3], v[4:5]
	global_load_dwordx4 v[6:9], v[0:1], off offset:2016
	ds_read_b128 v[2:5], v192 offset:30688
	ds_write_b128 v192, v[10:13] offset:22848
	s_waitcnt vmcnt(0) lgkmcnt(1)
	v_mul_f64 v[0:1], v[4:5], v[8:9]
	v_fma_f64 v[0:1], v[2:3], v[6:7], -v[0:1]
	v_mul_f64 v[2:3], v[2:3], v[8:9]
	v_fma_f64 v[2:3], v[4:5], v[6:7], v[2:3]
	ds_write_b128 v192, v[0:3] offset:30688
.LBB0_13:
	s_or_b64 exec, exec, s[2:3]
	s_waitcnt lgkmcnt(0)
	; wave barrier
	s_waitcnt lgkmcnt(0)
	ds_read_b128 v[72:75], v192
	ds_read_b128 v[236:239], v192 offset:896
	ds_read_b128 v[68:71], v192 offset:7840
	;; [unrolled: 1-line block ×31, first 2 shown]
	s_and_saveexec_b64 s[2:3], vcc
	s_cbranch_execz .LBB0_15
; %bb.14:
	ds_read_b128 v[204:207], v192 offset:7168
	ds_read_b128 v[208:211], v192 offset:15008
	;; [unrolled: 1-line block ×4, first 2 shown]
	s_waitcnt lgkmcnt(0)
	buffer_store_dword v108, off, s[36:39], 0 offset:16 ; 4-byte Folded Spill
	s_nop 0
	buffer_store_dword v109, off, s[36:39], 0 offset:20 ; 4-byte Folded Spill
	buffer_store_dword v110, off, s[36:39], 0 offset:24 ; 4-byte Folded Spill
	;; [unrolled: 1-line block ×3, first 2 shown]
.LBB0_15:
	s_or_b64 exec, exec, s[2:3]
	s_waitcnt lgkmcnt(14)
	v_add_f64 v[110:111], v[74:75], -v[94:95]
	v_add_f64 v[90:91], v[70:71], -v[90:91]
	;; [unrolled: 1-line block ×7, first 2 shown]
	s_waitcnt lgkmcnt(11)
	v_add_f64 v[62:63], v[54:55], -v[62:63]
	v_fma_f64 v[94:95], v[74:75], 2.0, -v[110:111]
	v_fma_f64 v[70:71], v[70:71], 2.0, -v[90:91]
	;; [unrolled: 1-line block ×6, first 2 shown]
	s_waitcnt lgkmcnt(10)
	v_add_f64 v[46:47], v[38:39], -v[46:47]
	s_waitcnt lgkmcnt(3)
	v_add_f64 v[30:31], v[22:23], -v[30:31]
	s_waitcnt lgkmcnt(2)
	v_add_f64 v[120:121], v[4:5], -v[12:13]
	v_add_f64 v[74:75], v[94:95], -v[70:71]
	v_add_f64 v[70:71], v[110:111], -v[88:89]
	;; [unrolled: 1-line block ×3, first 2 shown]
	v_add_f64 v[68:69], v[108:109], v[90:91]
	v_add_f64 v[122:123], v[6:7], -v[14:15]
	v_lshlrev_b32_e32 v124, 6, v193
	v_add_f64 v[84:85], v[76:77], -v[84:85]
	v_fma_f64 v[4:5], v[4:5], 2.0, -v[120:121]
	v_fma_f64 v[94:95], v[94:95], 2.0, -v[74:75]
	;; [unrolled: 1-line block ×3, first 2 shown]
	v_add_f64 v[110:111], v[238:239], -v[250:251]
	v_fma_f64 v[88:89], v[108:109], 2.0, -v[68:69]
	v_add_f64 v[108:109], v[236:237], -v[248:249]
	v_fma_f64 v[6:7], v[6:7], 2.0, -v[122:123]
	v_fma_f64 v[92:93], v[92:93], 2.0, -v[72:73]
	;; [unrolled: 1-line block ×4, first 2 shown]
	v_add_f64 v[60:61], v[52:53], -v[60:61]
	v_fma_f64 v[114:115], v[238:239], 2.0, -v[110:111]
	v_fma_f64 v[54:55], v[54:55], 2.0, -v[62:63]
	v_fma_f64 v[112:113], v[236:237], 2.0, -v[108:109]
	v_add_f64 v[44:45], v[36:37], -v[44:45]
	v_fma_f64 v[38:39], v[38:39], 2.0, -v[46:47]
	v_add_f64 v[28:29], v[20:21], -v[28:29]
	v_fma_f64 v[22:23], v[22:23], 2.0, -v[30:31]
	v_fma_f64 v[52:53], v[52:53], 2.0, -v[60:61]
	v_add_f64 v[218:219], v[114:115], -v[98:99]
	v_add_f64 v[98:99], v[110:111], -v[116:117]
	;; [unrolled: 1-line block ×5, first 2 shown]
	v_add_f64 v[96:97], v[108:109], v[118:119]
	s_waitcnt lgkmcnt(0)
	v_add_f64 v[118:119], v[0:1], -v[8:9]
	v_fma_f64 v[36:37], v[36:37], 2.0, -v[44:45]
	v_fma_f64 v[250:251], v[114:115], 2.0, -v[218:219]
	;; [unrolled: 1-line block ×4, first 2 shown]
	v_add_f64 v[82:83], v[86:87], -v[116:117]
	v_add_f64 v[116:117], v[48:49], -v[56:57]
	;; [unrolled: 1-line block ×3, first 2 shown]
	v_fma_f64 v[0:1], v[0:1], 2.0, -v[118:119]
	v_fma_f64 v[248:249], v[112:113], 2.0, -v[216:217]
	;; [unrolled: 1-line block ×3, first 2 shown]
	v_add_f64 v[112:113], v[252:253], -v[104:105]
	v_add_f64 v[114:115], v[254:255], -v[106:107]
	v_add_f64 v[110:111], v[200:201], -v[100:101]
	v_fma_f64 v[48:49], v[48:49], 2.0, -v[116:117]
	v_add_f64 v[58:59], v[62:63], -v[116:117]
	v_add_f64 v[116:117], v[32:33], -v[40:41]
	;; [unrolled: 1-line block ×5, first 2 shown]
	v_fma_f64 v[104:105], v[252:253], 2.0, -v[112:113]
	v_fma_f64 v[106:107], v[254:255], 2.0, -v[114:115]
	;; [unrolled: 1-line block ×3, first 2 shown]
	v_add_f64 v[110:111], v[114:115], -v[110:111]
	v_fma_f64 v[32:33], v[32:33], 2.0, -v[116:117]
	v_add_f64 v[42:43], v[46:47], -v[116:117]
	v_add_f64 v[116:117], v[16:17], -v[24:25]
	;; [unrolled: 1-line block ×3, first 2 shown]
	v_fma_f64 v[12:13], v[4:5], 2.0, -v[8:9]
	v_fma_f64 v[102:103], v[202:203], 2.0, -v[108:109]
	v_add_f64 v[100:101], v[104:105], -v[100:101]
	v_add_f64 v[108:109], v[112:113], v[108:109]
	v_fma_f64 v[114:115], v[114:115], 2.0, -v[110:111]
	v_fma_f64 v[66:67], v[66:67], 2.0, -v[80:81]
	;; [unrolled: 1-line block ×3, first 2 shown]
	v_add_f64 v[26:27], v[30:31], -v[116:117]
	v_add_f64 v[116:117], v[2:3], -v[10:11]
	;; [unrolled: 1-line block ×3, first 2 shown]
	v_fma_f64 v[104:105], v[104:105], 2.0, -v[100:101]
	v_fma_f64 v[112:113], v[112:113], 2.0, -v[108:109]
	v_add_f64 v[64:65], v[76:77], -v[64:65]
	v_add_f64 v[66:67], v[78:79], -v[66:67]
	v_add_f64 v[80:81], v[84:85], v[80:81]
	v_fma_f64 v[86:87], v[86:87], 2.0, -v[82:83]
	v_fma_f64 v[2:3], v[2:3], 2.0, -v[116:117]
	;; [unrolled: 1-line block ×4, first 2 shown]
	v_add_f64 v[48:49], v[52:53], -v[48:49]
	v_fma_f64 v[76:77], v[76:77], 2.0, -v[64:65]
	v_fma_f64 v[78:79], v[78:79], 2.0, -v[66:67]
	;; [unrolled: 1-line block ×3, first 2 shown]
	v_add_f64 v[56:57], v[60:61], v[56:57]
	v_add_f64 v[10:11], v[6:7], -v[2:3]
	v_fma_f64 v[62:63], v[62:63], 2.0, -v[58:59]
	v_add_f64 v[50:51], v[54:55], -v[50:51]
	v_fma_f64 v[52:53], v[52:53], 2.0, -v[48:49]
	v_fma_f64 v[34:35], v[34:35], 2.0, -v[40:41]
	v_add_f64 v[32:33], v[36:37], -v[32:33]
	v_add_f64 v[40:41], v[44:45], v[40:41]
	v_fma_f64 v[60:61], v[60:61], 2.0, -v[56:57]
	v_fma_f64 v[14:15], v[6:7], 2.0, -v[10:11]
	buffer_load_dword v4, off, s[36:39], 0 offset:16 ; 4-byte Folded Reload
	buffer_load_dword v5, off, s[36:39], 0 offset:20 ; 4-byte Folded Reload
	;; [unrolled: 1-line block ×4, first 2 shown]
	s_waitcnt lgkmcnt(0)
	; wave barrier
	ds_write_b128 v124, v[92:95]
	ds_write_b128 v124, v[88:91] offset:16
	ds_write_b128 v124, v[72:75] offset:32
	;; [unrolled: 1-line block ×3, first 2 shown]
	buffer_load_dword v68, off, s[36:39], 0 offset:560 ; 4-byte Folded Reload
	v_fma_f64 v[54:55], v[54:55], 2.0, -v[50:51]
	v_add_f64 v[34:35], v[38:39], -v[34:35]
	v_fma_f64 v[36:37], v[36:37], 2.0, -v[32:33]
	v_fma_f64 v[44:45], v[44:45], 2.0, -v[40:41]
	;; [unrolled: 1-line block ×5, first 2 shown]
	v_add_f64 v[24:25], v[28:29], v[24:25]
	v_fma_f64 v[30:31], v[30:31], 2.0, -v[26:27]
	v_fma_f64 v[38:39], v[38:39], 2.0, -v[34:35]
	v_add_f64 v[0:1], v[204:205], -v[212:213]
	v_add_f64 v[2:3], v[206:207], -v[214:215]
	v_add_f64 v[116:117], v[120:121], v[116:117]
	v_add_f64 v[16:17], v[20:21], -v[16:17]
	v_add_f64 v[18:19], v[22:23], -v[18:19]
	v_fma_f64 v[28:29], v[28:29], 2.0, -v[24:25]
	v_add_f64 v[118:119], v[122:123], -v[118:119]
	s_waitcnt vmcnt(0)
	ds_write_b128 v68, v[248:251]
	ds_write_b128 v68, v[236:239] offset:16
	ds_write_b128 v68, v[216:219] offset:32
	;; [unrolled: 1-line block ×3, first 2 shown]
	buffer_load_dword v68, off, s[36:39], 0 offset:564 ; 4-byte Folded Reload
	v_fma_f64 v[20:21], v[20:21], 2.0, -v[16:17]
	v_fma_f64 v[22:23], v[22:23], 2.0, -v[18:19]
	v_add_f64 v[4:5], v[208:209], -v[4:5]
	v_add_f64 v[6:7], v[210:211], -v[6:7]
	v_fma_f64 v[120:121], v[120:121], 2.0, -v[116:117]
	v_fma_f64 v[122:123], v[122:123], 2.0, -v[118:119]
	s_waitcnt vmcnt(0)
	ds_write_b128 v68, v[104:107]
	ds_write_b128 v68, v[112:115] offset:16
	ds_write_b128 v68, v[100:103] offset:32
	ds_write_b128 v68, v[108:111] offset:48
	buffer_load_dword v68, off, s[36:39], 0 offset:568 ; 4-byte Folded Reload
	v_add_f64 v[200:201], v[0:1], v[6:7]
	v_add_f64 v[202:203], v[2:3], -v[4:5]
	s_waitcnt vmcnt(0)
	ds_write_b128 v68, v[76:79]
	ds_write_b128 v68, v[84:87] offset:16
	ds_write_b128 v68, v[64:67] offset:32
	ds_write_b128 v68, v[80:83] offset:48
	buffer_load_dword v64, off, s[36:39], 0 offset:8 ; 4-byte Folded Reload
	s_waitcnt vmcnt(0)
	ds_write_b128 v64, v[52:55]
	ds_write_b128 v64, v[60:63] offset:16
	ds_write_b128 v64, v[48:51] offset:32
	ds_write_b128 v64, v[56:59] offset:48
	buffer_load_dword v48, off, s[36:39], 0 offset:572 ; 4-byte Folded Reload
	;; [unrolled: 6-line block ×4, first 2 shown]
	s_waitcnt vmcnt(0)
	ds_write_b128 v16, v[12:15]
	ds_write_b128 v16, v[120:123] offset:16
	ds_write_b128 v16, v[8:11] offset:32
	;; [unrolled: 1-line block ×3, first 2 shown]
	s_and_saveexec_b64 s[2:3], vcc
	s_cbranch_execz .LBB0_17
; %bb.16:
	v_fma_f64 v[8:9], v[206:207], 2.0, -v[2:3]
	v_fma_f64 v[6:7], v[210:211], 2.0, -v[6:7]
	;; [unrolled: 1-line block ×6, first 2 shown]
	v_add_f64 v[6:7], v[8:9], -v[6:7]
	v_add_f64 v[4:5], v[12:13], -v[4:5]
	v_fma_f64 v[10:11], v[8:9], 2.0, -v[6:7]
	v_fma_f64 v[8:9], v[12:13], 2.0, -v[4:5]
	buffer_load_dword v12, off, s[36:39], 0 offset:556 ; 4-byte Folded Reload
	s_waitcnt vmcnt(0)
	ds_write_b128 v12, v[0:3] offset:16
	ds_write_b128 v12, v[4:7] offset:32
	ds_write_b128 v12, v[8:11]
	ds_write_b128 v12, v[200:203] offset:48
.LBB0_17:
	s_or_b64 exec, exec, s[2:3]
	s_waitcnt lgkmcnt(0)
	; wave barrier
	s_waitcnt lgkmcnt(0)
	ds_read_b128 v[16:19], v192
	ds_read_b128 v[20:23], v192 offset:4480
	ds_read_b128 v[24:27], v192 offset:8960
	;; [unrolled: 1-line block ×34, first 2 shown]
	s_waitcnt lgkmcnt(14)
	v_mul_f64 v[92:93], v[146:147], v[22:23]
	s_mov_b32 s4, 0x37e14327
	s_mov_b32 s2, 0x36b3c0b5
	;; [unrolled: 1-line block ×7, first 2 shown]
	v_fma_f64 v[184:185], v[144:145], v[20:21], v[92:93]
	v_mul_f64 v[20:21], v[146:147], v[20:21]
	s_mov_b32 s13, 0xbfebfeb5
	s_mov_b32 s18, 0xaaaaaaaa
	;; [unrolled: 1-line block ×7, first 2 shown]
	v_fma_f64 v[20:21], v[144:145], v[22:23], -v[20:21]
	v_mul_f64 v[22:23], v[142:143], v[26:27]
	s_mov_b32 s24, s20
	s_mov_b32 s27, 0xbfd5d0dc
	;; [unrolled: 1-line block ×6, first 2 shown]
	s_waitcnt lgkmcnt(0)
	v_fma_f64 v[22:23], v[140:141], v[24:25], v[22:23]
	v_mul_f64 v[24:25], v[142:143], v[24:25]
	; wave barrier
	v_fma_f64 v[24:25], v[140:141], v[26:27], -v[24:25]
	v_mul_f64 v[26:27], v[134:135], v[30:31]
	v_fma_f64 v[26:27], v[132:133], v[28:29], v[26:27]
	v_mul_f64 v[28:29], v[134:135], v[28:29]
	v_fma_f64 v[28:29], v[132:133], v[30:31], -v[28:29]
	v_mul_f64 v[30:31], v[130:131], v[34:35]
	v_fma_f64 v[30:31], v[128:129], v[32:33], v[30:31]
	v_mul_f64 v[32:33], v[130:131], v[32:33]
	;; [unrolled: 4-line block ×10, first 2 shown]
	v_fma_f64 v[64:65], v[136:137], v[66:67], -v[42:43]
	v_mul_f64 v[42:43], v[146:147], v[70:71]
	v_add_f64 v[66:67], v[20:21], v[40:41]
	v_add_f64 v[20:21], v[20:21], -v[40:41]
	v_add_f64 v[40:41], v[22:23], v[34:35]
	v_add_f64 v[22:23], v[22:23], -v[34:35]
	;; [unrolled: 2-line block ×3, first 2 shown]
	v_fma_f64 v[116:117], v[144:145], v[68:69], v[42:43]
	v_mul_f64 v[42:43], v[146:147], v[68:69]
	v_fma_f64 v[120:121], v[144:145], v[70:71], -v[42:43]
	v_mul_f64 v[42:43], v[142:143], v[74:75]
	v_fma_f64 v[118:119], v[140:141], v[72:73], v[42:43]
	v_mul_f64 v[42:43], v[142:143], v[72:73]
	v_fma_f64 v[122:123], v[140:141], v[74:75], -v[42:43]
	v_mul_f64 v[42:43], v[134:135], v[78:79]
	;; [unrolled: 4-line block ×14, first 2 shown]
	v_fma_f64 v[76:77], v[132:133], v[168:169], v[42:43]
	v_mul_f64 v[42:43], v[134:135], v[168:169]
	v_add_f64 v[134:135], v[26:27], v[22:23]
	v_fma_f64 v[78:79], v[132:133], v[170:171], -v[42:43]
	v_mul_f64 v[42:43], v[130:131], v[174:175]
	v_fma_f64 v[80:81], v[128:129], v[172:173], v[42:43]
	v_mul_f64 v[42:43], v[130:131], v[172:173]
	v_fma_f64 v[82:83], v[128:129], v[174:175], -v[42:43]
	v_mul_f64 v[42:43], v[150:151], v[178:179]
	v_add_f64 v[128:129], v[24:25], v[36:37]
	v_add_f64 v[24:25], v[24:25], -v[36:37]
	v_add_f64 v[36:37], v[28:29], v[32:33]
	v_add_f64 v[28:29], v[32:33], -v[28:29]
	v_fma_f64 v[84:85], v[148:149], v[176:177], v[42:43]
	v_mul_f64 v[42:43], v[150:151], v[176:177]
	v_add_f64 v[32:33], v[128:129], v[66:67]
	v_add_f64 v[132:133], v[128:129], -v[66:67]
	v_add_f64 v[66:67], v[66:67], -v[36:37]
	;; [unrolled: 1-line block ×4, first 2 shown]
	v_fma_f64 v[86:87], v[148:149], v[178:179], -v[42:43]
	v_mul_f64 v[42:43], v[138:139], v[182:183]
	v_add_f64 v[32:33], v[36:37], v[32:33]
	v_fma_f64 v[88:89], v[136:137], v[180:181], v[42:43]
	v_mul_f64 v[42:43], v[138:139], v[180:181]
	v_add_f64 v[138:139], v[26:27], -v[22:23]
	v_add_f64 v[18:19], v[18:19], v[32:33]
	v_fma_f64 v[90:91], v[136:137], v[182:183], -v[42:43]
	v_add_f64 v[42:43], v[184:185], v[38:39]
	v_add_f64 v[38:39], v[184:185], -v[38:39]
	v_add_f64 v[136:137], v[28:29], v[24:25]
	v_add_f64 v[24:25], v[24:25], -v[20:21]
	v_add_f64 v[28:29], v[20:21], -v[28:29]
	v_fma_f64 v[32:33], v[32:33], s[18:19], v[18:19]
	v_add_f64 v[30:31], v[40:41], v[42:43]
	v_add_f64 v[130:131], v[40:41], -v[42:43]
	v_add_f64 v[42:43], v[42:43], -v[34:35]
	;; [unrolled: 1-line block ×5, first 2 shown]
	v_add_f64 v[20:21], v[136:137], v[20:21]
	v_mul_f64 v[136:137], v[140:141], s[16:17]
	v_add_f64 v[30:31], v[34:35], v[30:31]
	v_add_f64 v[34:35], v[134:135], v[38:39]
	v_mul_f64 v[36:37], v[42:43], s[4:5]
	v_mul_f64 v[38:39], v[66:67], s[4:5]
	;; [unrolled: 1-line block ×6, first 2 shown]
	v_add_f64 v[16:17], v[16:17], v[30:31]
	v_mul_f64 v[140:141], v[24:25], s[12:13]
	v_fma_f64 v[40:41], v[40:41], s[2:3], v[36:37]
	v_fma_f64 v[128:129], v[128:129], s[2:3], v[38:39]
	v_fma_f64 v[42:43], v[130:131], s[20:21], -v[42:43]
	v_fma_f64 v[66:67], v[132:133], s[20:21], -v[66:67]
	;; [unrolled: 1-line block ×4, first 2 shown]
	v_fma_f64 v[30:31], v[30:31], s[18:19], v[16:17]
	v_fma_f64 v[130:131], v[26:27], s[26:27], v[134:135]
	;; [unrolled: 1-line block ×3, first 2 shown]
	v_fma_f64 v[22:23], v[22:23], s[12:13], -v[134:135]
	v_fma_f64 v[24:25], v[24:25], s[12:13], -v[136:137]
	v_fma_f64 v[26:27], v[26:27], s[28:29], -v[138:139]
	v_fma_f64 v[28:29], v[28:29], s[28:29], -v[140:141]
	v_add_f64 v[128:129], v[128:129], v[32:33]
	v_add_f64 v[134:135], v[40:41], v[30:31]
	v_add_f64 v[40:41], v[42:43], v[30:31]
	v_add_f64 v[42:43], v[66:67], v[32:33]
	v_add_f64 v[66:67], v[36:37], v[30:31]
	v_add_f64 v[32:33], v[38:39], v[32:33]
	v_fma_f64 v[130:131], v[34:35], s[22:23], v[130:131]
	v_fma_f64 v[38:39], v[34:35], s[22:23], v[22:23]
	;; [unrolled: 1-line block ×6, first 2 shown]
	v_add_f64 v[22:23], v[128:129], -v[130:131]
	v_add_f64 v[30:31], v[38:39], v[42:43]
	v_add_f64 v[28:29], v[40:41], -v[36:37]
	v_add_f64 v[26:27], v[32:33], -v[34:35]
	v_add_f64 v[24:25], v[136:137], v[66:67]
	v_add_f64 v[36:37], v[36:37], v[40:41]
	v_add_f64 v[38:39], v[42:43], -v[38:39]
	v_add_f64 v[40:41], v[66:67], -v[136:137]
	v_add_f64 v[42:43], v[34:35], v[32:33]
	v_add_f64 v[34:35], v[130:131], v[128:129]
	;; [unrolled: 1-line block ×4, first 2 shown]
	v_add_f64 v[44:45], v[44:45], -v[64:65]
	v_add_f64 v[64:65], v[46:47], v[58:59]
	v_add_f64 v[130:131], v[48:49], v[60:61]
	v_add_f64 v[62:63], v[186:187], -v[62:63]
	v_add_f64 v[46:47], v[46:47], -v[58:59]
	;; [unrolled: 1-line block ×3, first 2 shown]
	v_add_f64 v[58:59], v[50:51], v[54:55]
	v_add_f64 v[60:61], v[52:53], v[56:57]
	v_add_f64 v[50:51], v[54:55], -v[50:51]
	v_add_f64 v[52:53], v[56:57], -v[52:53]
	v_add_f64 v[54:55], v[64:65], v[66:67]
	v_add_f64 v[56:57], v[130:131], v[128:129]
	;; [unrolled: 1-line block ×3, first 2 shown]
	v_add_f64 v[32:33], v[134:135], -v[132:133]
	v_add_f64 v[132:133], v[64:65], -v[66:67]
	v_add_f64 v[134:135], v[130:131], -v[128:129]
	v_add_f64 v[66:67], v[66:67], -v[58:59]
	v_add_f64 v[128:129], v[128:129], -v[60:61]
	v_add_f64 v[64:65], v[58:59], -v[64:65]
	v_add_f64 v[130:131], v[60:61], -v[130:131]
	v_add_f64 v[136:137], v[50:51], v[46:47]
	v_add_f64 v[138:139], v[52:53], v[48:49]
	v_add_f64 v[140:141], v[50:51], -v[46:47]
	v_add_f64 v[142:143], v[52:53], -v[48:49]
	v_add_f64 v[46:47], v[46:47], -v[62:63]
	v_add_f64 v[48:49], v[48:49], -v[44:45]
	v_add_f64 v[54:55], v[58:59], v[54:55]
	v_add_f64 v[56:57], v[60:61], v[56:57]
	v_add_f64 v[50:51], v[62:63], -v[50:51]
	v_add_f64 v[52:53], v[44:45], -v[52:53]
	v_add_f64 v[58:59], v[136:137], v[62:63]
	v_add_f64 v[44:45], v[138:139], v[44:45]
	v_mul_f64 v[60:61], v[66:67], s[4:5]
	v_mul_f64 v[62:63], v[128:129], s[4:5]
	v_add_f64 v[12:13], v[12:13], v[54:55]
	v_add_f64 v[14:15], v[14:15], v[56:57]
	v_mul_f64 v[66:67], v[64:65], s[2:3]
	v_mul_f64 v[128:129], v[130:131], s[2:3]
	;; [unrolled: 1-line block ×6, first 2 shown]
	v_fma_f64 v[54:55], v[54:55], s[18:19], v[12:13]
	v_fma_f64 v[56:57], v[56:57], s[18:19], v[14:15]
	;; [unrolled: 1-line block ×4, first 2 shown]
	v_fma_f64 v[66:67], v[132:133], s[20:21], -v[66:67]
	v_fma_f64 v[128:129], v[134:135], s[20:21], -v[128:129]
	;; [unrolled: 1-line block ×4, first 2 shown]
	v_fma_f64 v[132:133], v[50:51], s[26:27], v[136:137]
	v_fma_f64 v[134:135], v[52:53], s[26:27], v[138:139]
	v_fma_f64 v[46:47], v[46:47], s[12:13], -v[136:137]
	v_fma_f64 v[48:49], v[48:49], s[12:13], -v[138:139]
	;; [unrolled: 1-line block ×4, first 2 shown]
	v_add_f64 v[136:137], v[64:65], v[54:55]
	v_add_f64 v[130:131], v[130:131], v[56:57]
	;; [unrolled: 1-line block ×6, first 2 shown]
	v_fma_f64 v[132:133], v[58:59], s[22:23], v[132:133]
	v_fma_f64 v[134:135], v[44:45], s[22:23], v[134:135]
	;; [unrolled: 1-line block ×6, first 2 shown]
	v_add_f64 v[46:47], v[130:131], -v[132:133]
	v_add_f64 v[44:45], v[134:135], v[136:137]
	v_add_f64 v[54:55], v[62:63], v[66:67]
	v_add_f64 v[52:53], v[64:65], -v[60:61]
	v_add_f64 v[50:51], v[56:57], -v[58:59]
	v_add_f64 v[48:49], v[138:139], v[128:129]
	v_add_f64 v[60:61], v[60:61], v[64:65]
	v_add_f64 v[62:63], v[66:67], -v[62:63]
	v_add_f64 v[64:65], v[128:129], -v[138:139]
	v_add_f64 v[66:67], v[58:59], v[56:57]
	v_add_f64 v[56:57], v[136:137], -v[134:135]
	v_add_f64 v[58:59], v[132:133], v[130:131]
	v_add_f64 v[128:129], v[116:117], v[204:205]
	;; [unrolled: 1-line block ×5, first 2 shown]
	v_add_f64 v[116:117], v[116:117], -v[204:205]
	v_add_f64 v[120:121], v[120:121], -v[206:207]
	;; [unrolled: 1-line block ×4, first 2 shown]
	v_add_f64 v[136:137], v[124:125], v[152:153]
	v_add_f64 v[138:139], v[126:127], v[154:155]
	v_add_f64 v[124:125], v[152:153], -v[124:125]
	v_add_f64 v[126:127], v[154:155], -v[126:127]
	v_add_f64 v[140:141], v[132:133], v[128:129]
	v_add_f64 v[142:143], v[134:135], v[130:131]
	v_add_f64 v[144:145], v[132:133], -v[128:129]
	v_add_f64 v[146:147], v[134:135], -v[130:131]
	;; [unrolled: 1-line block ×6, first 2 shown]
	v_add_f64 v[148:149], v[124:125], v[118:119]
	v_add_f64 v[150:151], v[126:127], v[122:123]
	v_add_f64 v[152:153], v[124:125], -v[118:119]
	v_add_f64 v[154:155], v[126:127], -v[122:123]
	;; [unrolled: 1-line block ×4, first 2 shown]
	v_add_f64 v[136:137], v[136:137], v[140:141]
	v_add_f64 v[138:139], v[138:139], v[142:143]
	v_add_f64 v[124:125], v[116:117], -v[124:125]
	v_add_f64 v[126:127], v[120:121], -v[126:127]
	v_add_f64 v[116:117], v[148:149], v[116:117]
	v_add_f64 v[120:121], v[150:151], v[120:121]
	v_mul_f64 v[128:129], v[128:129], s[4:5]
	v_mul_f64 v[130:131], v[130:131], s[4:5]
	v_add_f64 v[8:9], v[8:9], v[136:137]
	v_add_f64 v[10:11], v[10:11], v[138:139]
	v_mul_f64 v[140:141], v[132:133], s[2:3]
	v_mul_f64 v[142:143], v[134:135], s[2:3]
	;; [unrolled: 1-line block ×6, first 2 shown]
	v_fma_f64 v[136:137], v[136:137], s[18:19], v[8:9]
	v_fma_f64 v[138:139], v[138:139], s[18:19], v[10:11]
	;; [unrolled: 1-line block ×4, first 2 shown]
	v_fma_f64 v[140:141], v[144:145], s[20:21], -v[140:141]
	v_fma_f64 v[142:143], v[146:147], s[20:21], -v[142:143]
	;; [unrolled: 1-line block ×4, first 2 shown]
	v_fma_f64 v[144:145], v[124:125], s[26:27], v[148:149]
	v_fma_f64 v[146:147], v[126:127], s[26:27], v[150:151]
	v_fma_f64 v[118:119], v[118:119], s[12:13], -v[148:149]
	v_fma_f64 v[122:123], v[122:123], s[12:13], -v[150:151]
	;; [unrolled: 1-line block ×4, first 2 shown]
	v_add_f64 v[148:149], v[132:133], v[136:137]
	v_add_f64 v[150:151], v[134:135], v[138:139]
	;; [unrolled: 1-line block ×6, first 2 shown]
	v_fma_f64 v[140:141], v[116:117], s[22:23], v[144:145]
	v_fma_f64 v[142:143], v[120:121], s[22:23], v[146:147]
	v_fma_f64 v[130:131], v[116:117], s[22:23], v[118:119]
	v_fma_f64 v[128:129], v[120:121], s[22:23], v[122:123]
	v_fma_f64 v[144:145], v[116:117], s[22:23], v[124:125]
	v_fma_f64 v[146:147], v[120:121], s[22:23], v[126:127]
	v_add_f64 v[118:119], v[150:151], -v[140:141]
	v_add_f64 v[116:117], v[142:143], v[148:149]
	v_add_f64 v[126:127], v[130:131], v[134:135]
	v_add_f64 v[124:125], v[132:133], -v[128:129]
	v_add_f64 v[122:123], v[138:139], -v[144:145]
	v_add_f64 v[120:121], v[146:147], v[136:137]
	v_add_f64 v[128:129], v[128:129], v[132:133]
	v_add_f64 v[130:131], v[134:135], -v[130:131]
	v_add_f64 v[132:133], v[136:137], -v[146:147]
	v_add_f64 v[134:135], v[144:145], v[138:139]
	v_add_f64 v[136:137], v[148:149], -v[142:143]
	v_add_f64 v[138:139], v[140:141], v[150:151]
	v_add_f64 v[140:141], v[92:93], v[112:113]
	;; [unrolled: 1-line block ×3, first 2 shown]
	v_add_f64 v[92:93], v[92:93], -v[112:113]
	v_add_f64 v[94:95], v[94:95], -v[114:115]
	v_add_f64 v[112:113], v[96:97], v[108:109]
	v_add_f64 v[114:115], v[98:99], v[110:111]
	v_add_f64 v[96:97], v[96:97], -v[108:109]
	v_add_f64 v[98:99], v[98:99], -v[110:111]
	v_add_f64 v[108:109], v[100:101], v[104:105]
	v_add_f64 v[110:111], v[102:103], v[106:107]
	;; [unrolled: 4-line block ×3, first 2 shown]
	v_add_f64 v[144:145], v[112:113], -v[140:141]
	v_add_f64 v[146:147], v[114:115], -v[142:143]
	;; [unrolled: 1-line block ×6, first 2 shown]
	v_add_f64 v[148:149], v[100:101], v[96:97]
	v_add_f64 v[150:151], v[102:103], v[98:99]
	v_add_f64 v[152:153], v[100:101], -v[96:97]
	v_add_f64 v[154:155], v[102:103], -v[98:99]
	v_add_f64 v[104:105], v[108:109], v[104:105]
	v_add_f64 v[106:107], v[110:111], v[106:107]
	v_add_f64 v[100:101], v[92:93], -v[100:101]
	v_add_f64 v[102:103], v[94:95], -v[102:103]
	;; [unrolled: 1-line block ×4, first 2 shown]
	v_add_f64 v[92:93], v[148:149], v[92:93]
	v_add_f64 v[94:95], v[150:151], v[94:95]
	;; [unrolled: 1-line block ×4, first 2 shown]
	v_mul_f64 v[108:109], v[140:141], s[4:5]
	v_mul_f64 v[110:111], v[142:143], s[4:5]
	;; [unrolled: 1-line block ×8, first 2 shown]
	v_fma_f64 v[104:105], v[104:105], s[18:19], v[4:5]
	v_fma_f64 v[106:107], v[106:107], s[18:19], v[6:7]
	;; [unrolled: 1-line block ×4, first 2 shown]
	v_fma_f64 v[140:141], v[144:145], s[20:21], -v[140:141]
	v_fma_f64 v[142:143], v[146:147], s[20:21], -v[142:143]
	;; [unrolled: 1-line block ×6, first 2 shown]
	v_fma_f64 v[144:145], v[100:101], s[26:27], v[148:149]
	v_fma_f64 v[146:147], v[102:103], s[26:27], v[150:151]
	v_fma_f64 v[100:101], v[100:101], s[28:29], -v[152:153]
	v_fma_f64 v[102:103], v[102:103], s[28:29], -v[154:155]
	v_add_f64 v[112:113], v[112:113], v[104:105]
	v_add_f64 v[114:115], v[114:115], v[106:107]
	;; [unrolled: 1-line block ×6, first 2 shown]
	v_fma_f64 v[106:107], v[92:93], s[22:23], v[96:97]
	v_fma_f64 v[104:105], v[94:95], s[22:23], v[98:99]
	;; [unrolled: 1-line block ×6, first 2 shown]
	v_add_f64 v[102:103], v[106:107], v[142:143]
	v_add_f64 v[100:101], v[140:141], -v[104:105]
	v_add_f64 v[104:105], v[104:105], v[140:141]
	v_add_f64 v[106:107], v[142:143], -v[106:107]
	v_add_f64 v[140:141], v[68:69], v[88:89]
	v_add_f64 v[142:143], v[72:73], v[90:91]
	v_add_f64 v[68:69], v[68:69], -v[88:89]
	v_add_f64 v[72:73], v[72:73], -v[90:91]
	v_add_f64 v[88:89], v[70:71], v[84:85]
	v_add_f64 v[90:91], v[74:75], v[86:87]
	v_add_f64 v[70:71], v[70:71], -v[84:85]
	;; [unrolled: 4-line block ×3, first 2 shown]
	v_add_f64 v[78:79], v[82:83], -v[78:79]
	v_add_f64 v[80:81], v[88:89], v[140:141]
	v_add_f64 v[82:83], v[90:91], v[142:143]
	;; [unrolled: 1-line block ×3, first 2 shown]
	v_add_f64 v[94:95], v[114:115], -v[144:145]
	v_add_f64 v[96:97], v[150:151], v[108:109]
	v_add_f64 v[98:99], v[110:111], -v[148:149]
	v_add_f64 v[108:109], v[108:109], -v[150:151]
	v_add_f64 v[110:111], v[148:149], v[110:111]
	v_add_f64 v[112:113], v[112:113], -v[146:147]
	v_add_f64 v[114:115], v[144:145], v[114:115]
	v_add_f64 v[144:145], v[88:89], -v[140:141]
	v_add_f64 v[146:147], v[90:91], -v[142:143]
	;; [unrolled: 1-line block ×6, first 2 shown]
	v_add_f64 v[148:149], v[76:77], v[70:71]
	v_add_f64 v[150:151], v[78:79], v[74:75]
	v_add_f64 v[152:153], v[76:77], -v[70:71]
	v_add_f64 v[154:155], v[78:79], -v[74:75]
	;; [unrolled: 1-line block ×3, first 2 shown]
	v_add_f64 v[80:81], v[84:85], v[80:81]
	v_add_f64 v[82:83], v[86:87], v[82:83]
	v_add_f64 v[76:77], v[68:69], -v[76:77]
	v_add_f64 v[78:79], v[72:73], -v[78:79]
	;; [unrolled: 1-line block ×3, first 2 shown]
	v_add_f64 v[84:85], v[148:149], v[68:69]
	v_add_f64 v[72:73], v[150:151], v[72:73]
	v_mul_f64 v[86:87], v[88:89], s[2:3]
	v_add_f64 v[68:69], v[0:1], v[80:81]
	v_add_f64 v[70:71], v[2:3], v[82:83]
	v_mul_f64 v[0:1], v[140:141], s[4:5]
	v_mul_f64 v[2:3], v[142:143], s[4:5]
	v_mul_f64 v[140:141], v[90:91], s[2:3]
	v_mul_f64 v[142:143], v[152:153], s[16:17]
	v_mul_f64 v[148:149], v[154:155], s[16:17]
	v_mul_f64 v[150:151], v[156:157], s[12:13]
	v_mul_f64 v[152:153], v[74:75], s[12:13]
	v_fma_f64 v[80:81], v[80:81], s[18:19], v[68:69]
	v_fma_f64 v[82:83], v[82:83], s[18:19], v[70:71]
	v_fma_f64 v[88:89], v[88:89], s[2:3], v[0:1]
	v_fma_f64 v[90:91], v[90:91], s[2:3], v[2:3]
	v_fma_f64 v[86:87], v[144:145], s[20:21], -v[86:87]
	v_fma_f64 v[140:141], v[146:147], s[20:21], -v[140:141]
	;; [unrolled: 1-line block ×4, first 2 shown]
	v_fma_f64 v[144:145], v[76:77], s[26:27], v[142:143]
	v_fma_f64 v[146:147], v[78:79], s[26:27], v[148:149]
	v_fma_f64 v[142:143], v[156:157], s[12:13], -v[142:143]
	v_fma_f64 v[74:75], v[74:75], s[12:13], -v[148:149]
	;; [unrolled: 1-line block ×4, first 2 shown]
	v_add_f64 v[148:149], v[88:89], v[80:81]
	v_add_f64 v[150:151], v[90:91], v[82:83]
	;; [unrolled: 1-line block ×5, first 2 shown]
	v_fma_f64 v[140:141], v[84:85], s[22:23], v[144:145]
	v_fma_f64 v[144:145], v[72:73], s[22:23], v[146:147]
	;; [unrolled: 1-line block ×5, first 2 shown]
	v_add_f64 v[0:1], v[0:1], v[80:81]
	v_fma_f64 v[152:153], v[72:73], s[22:23], v[78:79]
	v_add_f64 v[74:75], v[150:151], -v[140:141]
	v_add_f64 v[72:73], v[144:145], v[148:149]
	v_add_f64 v[82:83], v[90:91], v[88:89]
	v_add_f64 v[80:81], v[86:87], -v[142:143]
	v_add_f64 v[78:79], v[2:3], -v[146:147]
	v_add_f64 v[84:85], v[142:143], v[86:87]
	v_add_f64 v[86:87], v[88:89], -v[90:91]
	v_add_f64 v[90:91], v[146:147], v[2:3]
	v_add_f64 v[2:3], v[140:141], v[150:151]
	buffer_load_dword v140, off, s[36:39], 0 offset:584 ; 4-byte Folded Reload
	s_waitcnt vmcnt(0)
	ds_write_b128 v140, v[16:19]
	ds_write_b128 v140, v[20:23] offset:64
	ds_write_b128 v140, v[24:27] offset:128
	ds_write_b128 v140, v[28:31] offset:192
	ds_write_b128 v140, v[36:39] offset:256
	ds_write_b128 v140, v[40:43] offset:320
	ds_write_b128 v140, v[32:35] offset:384
	buffer_load_dword v16, off, s[36:39], 0 offset:588 ; 4-byte Folded Reload
	s_waitcnt vmcnt(0)
	ds_write_b128 v16, v[12:15]
	ds_write_b128 v16, v[44:47] offset:64
	ds_write_b128 v16, v[48:51] offset:128
	ds_write_b128 v16, v[52:55] offset:192
	ds_write_b128 v16, v[60:63] offset:256
	ds_write_b128 v16, v[64:67] offset:320
	ds_write_b128 v16, v[56:59] offset:384
	;; [unrolled: 9-line block ×4, first 2 shown]
	buffer_load_dword v4, off, s[36:39], 0 offset:600 ; 4-byte Folded Reload
	v_add_f64 v[76:77], v[152:153], v[0:1]
	v_add_f64 v[88:89], v[0:1], -v[152:153]
	v_add_f64 v[0:1], v[148:149], -v[144:145]
	s_waitcnt vmcnt(0)
	ds_write_b128 v4, v[68:71]
	ds_write_b128 v4, v[72:75] offset:64
	ds_write_b128 v4, v[76:79] offset:128
	;; [unrolled: 1-line block ×6, first 2 shown]
	s_waitcnt lgkmcnt(0)
	; wave barrier
	s_waitcnt lgkmcnt(0)
	ds_read_b128 v[68:71], v192
	ds_read_b128 v[208:211], v192 offset:15680
	ds_read_b128 v[64:67], v192 offset:896
	;; [unrolled: 1-line block ×33, first 2 shown]
	s_and_saveexec_b64 s[2:3], s[0:1]
	s_cbranch_execz .LBB0_19
; %bb.18:
	ds_read_b128 v[0:3], v192 offset:15232
	ds_read_b128 v[200:203], v192 offset:30912
.LBB0_19:
	s_or_b64 exec, exec, s[2:3]
	buffer_load_dword v112, off, s[36:39], 0 offset:620 ; 4-byte Folded Reload
	buffer_load_dword v113, off, s[36:39], 0 offset:624 ; 4-byte Folded Reload
	;; [unrolled: 1-line block ×16, first 2 shown]
	s_waitcnt vmcnt(12) lgkmcnt(14)
	v_mul_f64 v[108:109], v[114:115], v[210:211]
	v_mul_f64 v[110:111], v[114:115], v[208:209]
	s_waitcnt vmcnt(8)
	v_mul_f64 v[114:115], v[118:119], v[204:205]
	v_fma_f64 v[108:109], v[112:113], v[208:209], v[108:109]
	v_fma_f64 v[110:111], v[112:113], v[210:211], -v[110:111]
	v_mul_f64 v[112:113], v[118:119], v[206:207]
	v_fma_f64 v[114:115], v[116:117], v[206:207], -v[114:115]
	s_waitcnt vmcnt(4)
	v_mul_f64 v[118:119], v[122:123], v[148:149]
	v_fma_f64 v[112:113], v[116:117], v[204:205], v[112:113]
	v_mul_f64 v[116:117], v[122:123], v[150:151]
	v_fma_f64 v[118:119], v[120:121], v[150:151], -v[118:119]
	s_waitcnt vmcnt(0)
	v_mul_f64 v[122:123], v[126:127], v[144:145]
	v_fma_f64 v[116:117], v[120:121], v[148:149], v[116:117]
	v_mul_f64 v[120:121], v[126:127], v[146:147]
	v_fma_f64 v[122:123], v[124:125], v[146:147], -v[122:123]
	v_fma_f64 v[120:121], v[124:125], v[144:145], v[120:121]
	buffer_load_dword v144, off, s[36:39], 0 offset:636 ; 4-byte Folded Reload
	buffer_load_dword v145, off, s[36:39], 0 offset:640 ; 4-byte Folded Reload
	;; [unrolled: 1-line block ×4, first 2 shown]
	s_waitcnt vmcnt(0)
	v_mul_f64 v[124:125], v[146:147], v[142:143]
	v_mul_f64 v[126:127], v[146:147], v[140:141]
	v_fma_f64 v[124:125], v[144:145], v[140:141], v[124:125]
	v_fma_f64 v[126:127], v[144:145], v[142:143], -v[126:127]
	buffer_load_dword v142, off, s[36:39], 0 offset:652 ; 4-byte Folded Reload
	buffer_load_dword v143, off, s[36:39], 0 offset:656 ; 4-byte Folded Reload
	buffer_load_dword v144, off, s[36:39], 0 offset:660 ; 4-byte Folded Reload
	buffer_load_dword v145, off, s[36:39], 0 offset:664 ; 4-byte Folded Reload
	s_waitcnt vmcnt(0)
	v_mul_f64 v[140:141], v[144:145], v[138:139]
	v_fma_f64 v[140:141], v[142:143], v[136:137], v[140:141]
	v_mul_f64 v[136:137], v[144:145], v[136:137]
	v_fma_f64 v[136:137], v[142:143], v[138:139], -v[136:137]
	buffer_load_dword v142, off, s[36:39], 0 offset:684 ; 4-byte Folded Reload
	buffer_load_dword v143, off, s[36:39], 0 offset:688 ; 4-byte Folded Reload
	buffer_load_dword v144, off, s[36:39], 0 offset:692 ; 4-byte Folded Reload
	buffer_load_dword v145, off, s[36:39], 0 offset:696 ; 4-byte Folded Reload
	s_waitcnt vmcnt(0)
	v_mul_f64 v[138:139], v[144:145], v[134:135]
	v_fma_f64 v[138:139], v[142:143], v[132:133], v[138:139]
	v_mul_f64 v[132:133], v[144:145], v[132:133]
	v_fma_f64 v[132:133], v[142:143], v[134:135], -v[132:133]
	buffer_load_dword v142, off, s[36:39], 0 offset:716 ; 4-byte Folded Reload
	buffer_load_dword v143, off, s[36:39], 0 offset:720 ; 4-byte Folded Reload
	buffer_load_dword v144, off, s[36:39], 0 offset:724 ; 4-byte Folded Reload
	buffer_load_dword v145, off, s[36:39], 0 offset:728 ; 4-byte Folded Reload
	s_waitcnt vmcnt(0)
	v_mul_f64 v[134:135], v[144:145], v[130:131]
	v_fma_f64 v[134:135], v[142:143], v[128:129], v[134:135]
	v_mul_f64 v[128:129], v[144:145], v[128:129]
	v_fma_f64 v[128:129], v[142:143], v[130:131], -v[128:129]
	buffer_load_dword v142, off, s[36:39], 0 offset:732 ; 4-byte Folded Reload
	buffer_load_dword v143, off, s[36:39], 0 offset:736 ; 4-byte Folded Reload
	buffer_load_dword v144, off, s[36:39], 0 offset:740 ; 4-byte Folded Reload
	buffer_load_dword v145, off, s[36:39], 0 offset:744 ; 4-byte Folded Reload
	s_waitcnt vmcnt(0)
	v_mul_f64 v[130:131], v[144:145], v[106:107]
	v_fma_f64 v[130:131], v[142:143], v[104:105], v[130:131]
	v_mul_f64 v[104:105], v[144:145], v[104:105]
	buffer_load_dword v144, off, s[36:39], 0 offset:748 ; 4-byte Folded Reload
	buffer_load_dword v145, off, s[36:39], 0 offset:752 ; 4-byte Folded Reload
	;; [unrolled: 1-line block ×4, first 2 shown]
	v_fma_f64 v[106:107], v[142:143], v[106:107], -v[104:105]
	v_add_f64 v[106:107], v[38:39], -v[106:107]
	v_fma_f64 v[38:39], v[38:39], 2.0, -v[106:107]
	s_waitcnt vmcnt(0)
	v_mul_f64 v[104:105], v[146:147], v[102:103]
	v_fma_f64 v[142:143], v[144:145], v[100:101], v[104:105]
	v_mul_f64 v[100:101], v[146:147], v[100:101]
	v_fma_f64 v[144:145], v[144:145], v[102:103], -v[100:101]
	buffer_load_dword v102, off, s[36:39], 0 offset:764 ; 4-byte Folded Reload
	buffer_load_dword v103, off, s[36:39], 0 offset:768 ; 4-byte Folded Reload
	;; [unrolled: 1-line block ×4, first 2 shown]
	s_waitcnt vmcnt(0) lgkmcnt(12)
	v_mul_f64 v[100:101], v[104:105], v[98:99]
	v_fma_f64 v[146:147], v[102:103], v[96:97], v[100:101]
	v_mul_f64 v[96:97], v[104:105], v[96:97]
	v_add_f64 v[104:105], v[36:37], -v[130:131]
	v_fma_f64 v[148:149], v[102:103], v[98:99], -v[96:97]
	buffer_load_dword v98, off, s[36:39], 0 offset:780 ; 4-byte Folded Reload
	buffer_load_dword v99, off, s[36:39], 0 offset:784 ; 4-byte Folded Reload
	buffer_load_dword v100, off, s[36:39], 0 offset:788 ; 4-byte Folded Reload
	buffer_load_dword v101, off, s[36:39], 0 offset:792 ; 4-byte Folded Reload
	v_add_f64 v[102:103], v[42:43], -v[128:129]
	v_fma_f64 v[36:37], v[36:37], 2.0, -v[104:105]
	v_fma_f64 v[42:43], v[42:43], 2.0, -v[102:103]
	s_waitcnt vmcnt(0) lgkmcnt(10)
	v_mul_f64 v[96:97], v[100:101], v[94:95]
	v_fma_f64 v[150:151], v[98:99], v[92:93], v[96:97]
	v_mul_f64 v[92:93], v[100:101], v[92:93]
	v_add_f64 v[100:101], v[40:41], -v[134:135]
	v_fma_f64 v[152:153], v[98:99], v[94:95], -v[92:93]
	buffer_load_dword v94, off, s[36:39], 0 offset:796 ; 4-byte Folded Reload
	buffer_load_dword v95, off, s[36:39], 0 offset:800 ; 4-byte Folded Reload
	buffer_load_dword v96, off, s[36:39], 0 offset:804 ; 4-byte Folded Reload
	buffer_load_dword v97, off, s[36:39], 0 offset:808 ; 4-byte Folded Reload
	v_add_f64 v[98:99], v[46:47], -v[132:133]
	v_fma_f64 v[40:41], v[40:41], 2.0, -v[100:101]
	v_fma_f64 v[46:47], v[46:47], 2.0, -v[98:99]
	;; [unrolled: 13-line block ×3, first 2 shown]
	s_waitcnt vmcnt(0) lgkmcnt(6)
	v_mul_f64 v[88:89], v[92:93], v[86:87]
	v_fma_f64 v[158:159], v[90:91], v[84:85], v[88:89]
	v_mul_f64 v[84:85], v[92:93], v[84:85]
	v_add_f64 v[92:93], v[48:49], -v[140:141]
	v_fma_f64 v[160:161], v[90:91], v[86:87], -v[84:85]
	buffer_load_dword v86, off, s[36:39], 0 offset:828 ; 4-byte Folded Reload
	buffer_load_dword v87, off, s[36:39], 0 offset:832 ; 4-byte Folded Reload
	;; [unrolled: 1-line block ×4, first 2 shown]
	v_add_f64 v[90:91], v[54:55], -v[126:127]
	v_fma_f64 v[48:49], v[48:49], 2.0, -v[92:93]
	v_add_f64 v[126:127], v[18:19], -v[160:161]
	v_fma_f64 v[54:55], v[54:55], 2.0, -v[90:91]
	v_fma_f64 v[18:19], v[18:19], 2.0, -v[126:127]
	s_waitcnt vmcnt(0) lgkmcnt(4)
	v_mul_f64 v[84:85], v[88:89], v[82:83]
	v_fma_f64 v[162:163], v[86:87], v[80:81], v[84:85]
	v_mul_f64 v[80:81], v[88:89], v[80:81]
	v_add_f64 v[88:89], v[52:53], -v[124:125]
	v_add_f64 v[124:125], v[16:17], -v[158:159]
	;; [unrolled: 1-line block ×3, first 2 shown]
	v_fma_f64 v[164:165], v[86:87], v[82:83], -v[80:81]
	buffer_load_dword v82, off, s[36:39], 0 offset:844 ; 4-byte Folded Reload
	buffer_load_dword v83, off, s[36:39], 0 offset:848 ; 4-byte Folded Reload
	;; [unrolled: 1-line block ×4, first 2 shown]
	v_add_f64 v[86:87], v[58:59], -v[122:123]
	v_fma_f64 v[52:53], v[52:53], 2.0, -v[88:89]
	v_add_f64 v[122:123], v[22:23], -v[156:157]
	v_fma_f64 v[16:17], v[16:17], 2.0, -v[124:125]
	v_fma_f64 v[12:13], v[12:13], 2.0, -v[128:129]
	v_add_f64 v[130:131], v[14:15], -v[164:165]
	v_fma_f64 v[58:59], v[58:59], 2.0, -v[86:87]
	v_fma_f64 v[22:23], v[22:23], 2.0, -v[122:123]
	;; [unrolled: 1-line block ×3, first 2 shown]
	s_waitcnt vmcnt(0) lgkmcnt(2)
	v_mul_f64 v[80:81], v[84:85], v[78:79]
	v_fma_f64 v[166:167], v[82:83], v[76:77], v[80:81]
	v_mul_f64 v[76:77], v[84:85], v[76:77]
	v_add_f64 v[84:85], v[56:57], -v[120:121]
	v_add_f64 v[120:121], v[20:21], -v[154:155]
	;; [unrolled: 1-line block ×3, first 2 shown]
	v_fma_f64 v[168:169], v[82:83], v[78:79], -v[76:77]
	buffer_load_dword v78, off, s[36:39], 0 offset:928 ; 4-byte Folded Reload
	buffer_load_dword v79, off, s[36:39], 0 offset:932 ; 4-byte Folded Reload
	;; [unrolled: 1-line block ×4, first 2 shown]
	s_waitcnt lgkmcnt(0)
	; wave barrier
	s_waitcnt lgkmcnt(0)
	buffer_load_dword v140, off, s[36:39], 0 offset:860 ; 4-byte Folded Reload
	v_add_f64 v[82:83], v[62:63], -v[118:119]
	v_fma_f64 v[56:57], v[56:57], 2.0, -v[84:85]
	v_add_f64 v[118:119], v[26:27], -v[152:153]
	v_fma_f64 v[20:21], v[20:21], 2.0, -v[120:121]
	;; [unrolled: 2-line block ×3, first 2 shown]
	v_fma_f64 v[62:63], v[62:63], 2.0, -v[82:83]
	v_fma_f64 v[26:27], v[26:27], 2.0, -v[118:119]
	;; [unrolled: 1-line block ×3, first 2 shown]
	s_waitcnt vmcnt(1)
	v_mul_f64 v[76:77], v[80:81], v[74:75]
	v_fma_f64 v[170:171], v[78:79], v[72:73], v[76:77]
	v_mul_f64 v[72:73], v[80:81], v[72:73]
	v_add_f64 v[76:77], v[64:65], -v[112:113]
	v_add_f64 v[80:81], v[60:61], -v[116:117]
	;; [unrolled: 1-line block ×5, first 2 shown]
	v_fma_f64 v[172:173], v[78:79], v[74:75], -v[72:73]
	v_add_f64 v[72:73], v[68:69], -v[108:109]
	v_add_f64 v[74:75], v[70:71], -v[110:111]
	;; [unrolled: 1-line block ×3, first 2 shown]
	v_fma_f64 v[64:65], v[64:65], 2.0, -v[76:77]
	v_fma_f64 v[60:61], v[60:61], 2.0, -v[80:81]
	v_add_f64 v[108:109], v[32:33], -v[142:143]
	v_add_f64 v[110:111], v[34:35], -v[144:145]
	;; [unrolled: 1-line block ×3, first 2 shown]
	v_fma_f64 v[68:69], v[68:69], 2.0, -v[72:73]
	v_fma_f64 v[70:71], v[70:71], 2.0, -v[74:75]
	s_waitcnt vmcnt(0)
	ds_write_b128 v140, v[68:71]
	ds_write_b128 v140, v[72:75] offset:448
	buffer_load_dword v68, off, s[36:39], 0 offset:864 ; 4-byte Folded Reload
	v_fma_f64 v[66:67], v[66:67], 2.0, -v[78:79]
	v_fma_f64 v[32:33], v[32:33], 2.0, -v[108:109]
	;; [unrolled: 1-line block ×6, first 2 shown]
	v_add_f64 v[138:139], v[6:7], -v[172:173]
	v_fma_f64 v[4:5], v[4:5], 2.0, -v[136:137]
	s_waitcnt vmcnt(0)
	ds_write_b128 v68, v[64:67]
	ds_write_b128 v68, v[76:79] offset:448
	buffer_load_dword v64, off, s[36:39], 0 offset:868 ; 4-byte Folded Reload
	v_fma_f64 v[6:7], v[6:7], 2.0, -v[138:139]
	s_waitcnt vmcnt(0)
	ds_write_b128 v64, v[60:63]
	ds_write_b128 v64, v[80:83] offset:448
	buffer_load_dword v60, off, s[36:39], 0 offset:872 ; 4-byte Folded Reload
	s_waitcnt vmcnt(0)
	ds_write_b128 v60, v[56:59]
	ds_write_b128 v60, v[84:87] offset:448
	buffer_load_dword v56, off, s[36:39], 0 offset:876 ; 4-byte Folded Reload
	;; [unrolled: 4-line block ×14, first 2 shown]
	s_waitcnt vmcnt(0)
	ds_write_b128 v8, v[4:7]
	ds_write_b128 v8, v[136:139] offset:448
	s_and_saveexec_b64 s[2:3], s[0:1]
	s_cbranch_execz .LBB0_21
; %bb.20:
	buffer_load_dword v8, off, s[36:39], 0 offset:1676 ; 4-byte Folded Reload
	buffer_load_dword v9, off, s[36:39], 0 offset:1680 ; 4-byte Folded Reload
	;; [unrolled: 1-line block ×4, first 2 shown]
	s_waitcnt vmcnt(0)
	v_mul_f64 v[4:5], v[10:11], v[200:201]
	v_mul_f64 v[6:7], v[10:11], v[202:203]
	v_fma_f64 v[4:5], v[8:9], v[202:203], -v[4:5]
	v_fma_f64 v[8:9], v[8:9], v[200:201], v[6:7]
	v_add_f64 v[6:7], v[2:3], -v[4:5]
	v_add_f64 v[4:5], v[0:1], -v[8:9]
	buffer_load_dword v8, off, s[36:39], 0 offset:580 ; 4-byte Folded Reload
	v_fma_f64 v[2:3], v[2:3], 2.0, -v[6:7]
	v_fma_f64 v[0:1], v[0:1], 2.0, -v[4:5]
	s_waitcnt vmcnt(0)
	ds_write_b128 v8, v[0:3] offset:30464
	ds_write_b128 v8, v[4:7] offset:30912
.LBB0_21:
	s_or_b64 exec, exec, s[2:3]
	s_waitcnt lgkmcnt(0)
	; wave barrier
	s_waitcnt lgkmcnt(0)
	ds_read_b128 v[0:3], v192 offset:4480
	s_mov_b32 s0, 0x36b3c0b5
	s_mov_b32 s2, 0x429ad128
	s_mov_b32 s22, 0x37e14327
	s_mov_b32 s1, 0x3fac98ee
	s_waitcnt lgkmcnt(0)
	v_mul_f64 v[4:5], v[242:243], v[2:3]
	s_mov_b32 s3, 0xbfebfeb5
	s_mov_b32 s23, 0x3fe948f6
	;; [unrolled: 1-line block ×7, first 2 shown]
	v_fma_f64 v[4:5], v[240:241], v[0:1], v[4:5]
	v_mul_f64 v[0:1], v[242:243], v[0:1]
	s_mov_b32 s24, s16
	s_mov_b32 s21, 0xbfd5d0dc
	;; [unrolled: 1-line block ×7, first 2 shown]
	v_fma_f64 v[6:7], v[240:241], v[2:3], -v[0:1]
	ds_read_b128 v[0:3], v192 offset:5376
	s_mov_b32 s5, 0xbfdc38aa
	s_waitcnt lgkmcnt(0)
	v_mul_f64 v[8:9], v[242:243], v[2:3]
	v_fma_f64 v[92:93], v[240:241], v[0:1], v[8:9]
	v_mul_f64 v[0:1], v[242:243], v[0:1]
	v_fma_f64 v[94:95], v[240:241], v[2:3], -v[0:1]
	ds_read_b128 v[0:3], v192 offset:8960
	s_waitcnt lgkmcnt(0)
	v_mul_f64 v[8:9], v[234:235], v[2:3]
	v_fma_f64 v[8:9], v[232:233], v[0:1], v[8:9]
	v_mul_f64 v[0:1], v[234:235], v[0:1]
	v_fma_f64 v[10:11], v[232:233], v[2:3], -v[0:1]
	ds_read_b128 v[0:3], v192 offset:9856
	;; [unrolled: 6-line block ×6, first 2 shown]
	s_waitcnt lgkmcnt(0)
	v_mul_f64 v[20:21], v[222:223], v[2:3]
	v_add_f64 v[136:137], v[14:15], v[18:19]
	v_add_f64 v[14:15], v[18:19], -v[14:15]
	v_fma_f64 v[104:105], v[220:221], v[0:1], v[20:21]
	v_mul_f64 v[0:1], v[222:223], v[0:1]
	v_fma_f64 v[106:107], v[220:221], v[2:3], -v[0:1]
	ds_read_b128 v[0:3], v192 offset:22400
	s_waitcnt lgkmcnt(0)
	v_mul_f64 v[20:21], v[246:247], v[2:3]
	v_fma_f64 v[20:21], v[244:245], v[0:1], v[20:21]
	v_mul_f64 v[0:1], v[246:247], v[0:1]
	v_fma_f64 v[22:23], v[244:245], v[2:3], -v[0:1]
	ds_read_b128 v[0:3], v192 offset:23296
	s_waitcnt lgkmcnt(0)
	v_mul_f64 v[24:25], v[246:247], v[2:3]
	v_add_f64 v[134:135], v[10:11], v[22:23]
	v_fma_f64 v[108:109], v[244:245], v[0:1], v[24:25]
	v_mul_f64 v[0:1], v[246:247], v[0:1]
	v_fma_f64 v[110:111], v[244:245], v[2:3], -v[0:1]
	ds_read_b128 v[0:3], v192 offset:26880
	s_waitcnt lgkmcnt(0)
	v_mul_f64 v[24:25], v[230:231], v[2:3]
	v_fma_f64 v[24:25], v[228:229], v[0:1], v[24:25]
	v_mul_f64 v[0:1], v[230:231], v[0:1]
	v_fma_f64 v[26:27], v[228:229], v[2:3], -v[0:1]
	ds_read_b128 v[0:3], v192 offset:27776
	s_waitcnt lgkmcnt(0)
	v_mul_f64 v[28:29], v[230:231], v[2:3]
	v_add_f64 v[132:133], v[6:7], v[26:27]
	v_fma_f64 v[112:113], v[228:229], v[0:1], v[28:29]
	v_mul_f64 v[0:1], v[230:231], v[0:1]
	v_fma_f64 v[114:115], v[228:229], v[2:3], -v[0:1]
	ds_read_b128 v[0:3], v192 offset:6272
	buffer_load_dword v30, off, s[36:39], 0 offset:1024 ; 4-byte Folded Reload
	buffer_load_dword v31, off, s[36:39], 0 offset:1028 ; 4-byte Folded Reload
	buffer_load_dword v32, off, s[36:39], 0 offset:1032 ; 4-byte Folded Reload
	buffer_load_dword v33, off, s[36:39], 0 offset:1036 ; 4-byte Folded Reload
	s_waitcnt vmcnt(0) lgkmcnt(0)
	v_mul_f64 v[28:29], v[32:33], v[2:3]
	v_fma_f64 v[82:83], v[30:31], v[0:1], v[28:29]
	v_mul_f64 v[0:1], v[32:33], v[0:1]
	v_fma_f64 v[80:81], v[30:31], v[2:3], -v[0:1]
	ds_read_b128 v[0:3], v192 offset:10752
	buffer_load_dword v30, off, s[36:39], 0 offset:976 ; 4-byte Folded Reload
	buffer_load_dword v31, off, s[36:39], 0 offset:980 ; 4-byte Folded Reload
	buffer_load_dword v32, off, s[36:39], 0 offset:984 ; 4-byte Folded Reload
	buffer_load_dword v33, off, s[36:39], 0 offset:988 ; 4-byte Folded Reload
	s_waitcnt vmcnt(0) lgkmcnt(0)
	v_mul_f64 v[28:29], v[32:33], v[2:3]
	;; [unrolled: 10-line block ×13, first 2 shown]
	v_fma_f64 v[34:35], v[30:31], v[0:1], v[28:29]
	v_mul_f64 v[0:1], v[32:33], v[0:1]
	v_fma_f64 v[32:33], v[30:31], v[2:3], -v[0:1]
	ds_read_b128 v[0:3], v192 offset:12544
	buffer_load_dword v38, off, s[36:39], 0 offset:1168 ; 4-byte Folded Reload
	buffer_load_dword v39, off, s[36:39], 0 offset:1172 ; 4-byte Folded Reload
	;; [unrolled: 1-line block ×4, first 2 shown]
	v_add_f64 v[30:31], v[8:9], v[20:21]
	s_waitcnt vmcnt(0) lgkmcnt(0)
	v_mul_f64 v[28:29], v[40:41], v[2:3]
	v_fma_f64 v[36:37], v[38:39], v[0:1], v[28:29]
	v_mul_f64 v[0:1], v[40:41], v[0:1]
	v_fma_f64 v[40:41], v[38:39], v[2:3], -v[0:1]
	ds_read_b128 v[0:3], v192 offset:17024
	buffer_load_dword v42, off, s[36:39], 0 offset:1152 ; 4-byte Folded Reload
	buffer_load_dword v43, off, s[36:39], 0 offset:1156 ; 4-byte Folded Reload
	buffer_load_dword v44, off, s[36:39], 0 offset:1160 ; 4-byte Folded Reload
	buffer_load_dword v45, off, s[36:39], 0 offset:1164 ; 4-byte Folded Reload
	s_waitcnt vmcnt(0) lgkmcnt(0)
	v_mul_f64 v[28:29], v[44:45], v[2:3]
	v_fma_f64 v[38:39], v[42:43], v[0:1], v[28:29]
	v_mul_f64 v[0:1], v[44:45], v[0:1]
	v_fma_f64 v[42:43], v[42:43], v[2:3], -v[0:1]
	ds_read_b128 v[0:3], v192 offset:21504
	buffer_load_dword v46, off, s[36:39], 0 offset:1136 ; 4-byte Folded Reload
	buffer_load_dword v47, off, s[36:39], 0 offset:1140 ; 4-byte Folded Reload
	buffer_load_dword v48, off, s[36:39], 0 offset:1144 ; 4-byte Folded Reload
	buffer_load_dword v49, off, s[36:39], 0 offset:1148 ; 4-byte Folded Reload
	;; [unrolled: 10-line block ×4, first 2 shown]
	s_waitcnt vmcnt(0) lgkmcnt(0)
	v_mul_f64 v[28:29], v[118:119], v[2:3]
	v_fma_f64 v[54:55], v[116:117], v[0:1], v[28:29]
	v_mul_f64 v[0:1], v[118:119], v[0:1]
	v_add_f64 v[28:29], v[4:5], v[24:25]
	v_add_f64 v[24:25], v[4:5], -v[24:25]
	v_add_f64 v[4:5], v[8:9], -v[20:21]
	;; [unrolled: 1-line block ×3, first 2 shown]
	v_fma_f64 v[52:53], v[116:117], v[2:3], -v[0:1]
	v_add_f64 v[116:117], v[12:13], v[16:17]
	v_add_f64 v[0:1], v[30:31], v[28:29]
	v_add_f64 v[12:13], v[16:17], -v[12:13]
	v_add_f64 v[16:17], v[6:7], -v[26:27]
	;; [unrolled: 1-line block ×6, first 2 shown]
	v_add_f64 v[118:119], v[116:117], v[0:1]
	v_add_f64 v[0:1], v[134:135], v[132:133]
	;; [unrolled: 1-line block ×3, first 2 shown]
	v_add_f64 v[10:11], v[12:13], -v[4:5]
	v_add_f64 v[4:5], v[14:15], v[6:7]
	v_add_f64 v[140:141], v[6:7], -v[16:17]
	v_add_f64 v[28:29], v[28:29], -v[116:117]
	;; [unrolled: 1-line block ×4, first 2 shown]
	v_add_f64 v[138:139], v[136:137], v[0:1]
	ds_read_b128 v[0:3], v192
	v_add_f64 v[116:117], v[132:133], -v[136:137]
	v_add_f64 v[144:145], v[4:5], v[16:17]
	v_mul_f64 v[4:5], v[26:27], s[0:1]
	v_add_f64 v[16:17], v[16:17], -v[14:15]
	s_waitcnt lgkmcnt(0)
	v_add_f64 v[0:1], v[0:1], v[118:119]
	v_mul_f64 v[28:29], v[28:29], s[22:23]
	v_mul_f64 v[14:15], v[140:141], s[2:3]
	v_add_f64 v[2:3], v[2:3], v[138:139]
	v_add_f64 v[142:143], v[8:9], v[24:25]
	v_mul_f64 v[6:7], v[30:31], s[0:1]
	v_fma_f64 v[4:5], v[18:19], s[16:17], -v[4:5]
	v_add_f64 v[24:25], v[24:25], -v[12:13]
	v_fma_f64 v[118:119], v[118:119], s[12:13], v[0:1]
	v_mul_f64 v[116:117], v[116:117], s[22:23]
	v_mul_f64 v[12:13], v[22:23], s[2:3]
	v_fma_f64 v[18:19], v[18:19], s[24:25], -v[28:29]
	v_fma_f64 v[14:15], v[16:17], s[26:27], -v[14:15]
	v_fma_f64 v[138:139], v[138:139], s[12:13], v[2:3]
	v_fma_f64 v[6:7], v[20:21], s[16:17], -v[6:7]
	v_mul_f64 v[134:135], v[134:135], s[18:19]
	v_mul_f64 v[146:147], v[10:11], s[18:19]
	v_fma_f64 v[20:21], v[20:21], s[24:25], -v[116:117]
	v_fma_f64 v[12:13], v[24:25], s[26:27], -v[12:13]
	v_add_f64 v[18:19], v[18:19], v[118:119]
	v_fma_f64 v[14:15], v[144:145], s[4:5], v[14:15]
	v_add_f64 v[8:9], v[4:5], v[118:119]
	v_add_f64 v[10:11], v[6:7], v[138:139]
	v_fma_f64 v[16:17], v[16:17], s[20:21], v[134:135]
	v_fma_f64 v[24:25], v[24:25], s[20:21], v[146:147]
	v_add_f64 v[132:133], v[20:21], v[138:139]
	v_fma_f64 v[136:137], v[142:143], s[4:5], v[12:13]
	v_fma_f64 v[4:5], v[140:141], s[2:3], -v[134:135]
	v_add_f64 v[20:21], v[14:15], v[18:19]
	v_add_f64 v[12:13], v[18:19], -v[14:15]
	v_fma_f64 v[18:19], v[26:27], s[0:1], v[28:29]
	v_fma_f64 v[26:27], v[30:31], s[0:1], v[116:117]
	;; [unrolled: 1-line block ×4, first 2 shown]
	v_add_f64 v[116:117], v[92:93], v[112:113]
	v_fma_f64 v[148:149], v[144:145], s[4:5], v[4:5]
	v_fma_f64 v[4:5], v[22:23], s[2:3], -v[146:147]
	v_add_f64 v[22:23], v[132:133], -v[136:137]
	v_add_f64 v[18:19], v[18:19], v[118:119]
	v_add_f64 v[28:29], v[26:27], v[138:139]
	;; [unrolled: 1-line block ×9, first 2 shown]
	v_add_f64 v[26:27], v[28:29], -v[30:31]
	v_add_f64 v[16:17], v[18:19], -v[16:17]
	v_add_f64 v[18:19], v[30:31], v[28:29]
	v_add_f64 v[28:29], v[118:119], v[116:117]
	v_add_f64 v[112:113], v[92:93], -v[112:113]
	v_add_f64 v[92:93], v[98:99], -v[110:111]
	;; [unrolled: 1-line block ×7, first 2 shown]
	v_add_f64 v[134:135], v[132:133], v[28:29]
	v_add_f64 v[28:29], v[138:139], v[136:137]
	v_add_f64 v[108:109], v[132:133], -v[118:119]
	v_add_f64 v[116:117], v[116:117], -v[132:133]
	;; [unrolled: 1-line block ×3, first 2 shown]
	v_fma_f64 v[150:151], v[142:143], s[4:5], v[4:5]
	v_add_f64 v[144:145], v[100:101], v[94:95]
	v_add_f64 v[4:5], v[8:9], -v[148:149]
	v_add_f64 v[8:9], v[148:149], v[8:9]
	v_add_f64 v[142:143], v[140:141], v[28:29]
	ds_read_b128 v[28:31], v192 offset:896
	v_add_f64 v[110:111], v[138:139], -v[136:137]
	v_add_f64 v[114:115], v[140:141], -v[138:139]
	;; [unrolled: 1-line block ×3, first 2 shown]
	v_add_f64 v[98:99], v[102:103], v[92:93]
	s_waitcnt lgkmcnt(0)
	v_add_f64 v[28:29], v[28:29], v[134:135]
	v_mul_f64 v[92:93], v[108:109], s[0:1]
	v_add_f64 v[146:147], v[100:101], -v[94:95]
	v_add_f64 v[148:149], v[94:95], -v[112:113]
	v_add_f64 v[144:145], v[144:145], v[112:113]
	v_add_f64 v[132:133], v[136:137], -v[140:141]
	v_add_f64 v[112:113], v[112:113], -v[100:101]
	;; [unrolled: 1-line block ×3, first 2 shown]
	v_mul_f64 v[116:117], v[116:117], s[22:23]
	v_mul_f64 v[100:101], v[118:119], s[2:3]
	v_add_f64 v[6:7], v[150:151], v[10:11]
	v_add_f64 v[10:11], v[10:11], -v[150:151]
	v_add_f64 v[30:31], v[30:31], v[142:143]
	v_mul_f64 v[138:139], v[96:97], s[18:19]
	v_fma_f64 v[134:135], v[134:135], s[12:13], v[28:29]
	v_fma_f64 v[92:93], v[104:105], s[16:17], -v[92:93]
	v_mul_f64 v[96:97], v[114:115], s[0:1]
	v_add_f64 v[150:151], v[98:99], v[106:107]
	v_mul_f64 v[132:133], v[132:133], s[22:23]
	v_mul_f64 v[102:103], v[148:149], s[2:3]
	v_fma_f64 v[104:105], v[104:105], s[24:25], -v[116:117]
	v_fma_f64 v[100:101], v[136:137], s[26:27], -v[100:101]
	v_fma_f64 v[142:143], v[142:143], s[12:13], v[30:31]
	v_mul_f64 v[146:147], v[146:147], s[18:19]
	v_fma_f64 v[96:97], v[110:111], s[16:17], -v[96:97]
	v_add_f64 v[98:99], v[92:93], v[134:135]
	v_fma_f64 v[106:107], v[110:111], s[24:25], -v[132:133]
	v_fma_f64 v[102:103], v[112:113], s[26:27], -v[102:103]
	v_add_f64 v[104:105], v[104:105], v[134:135]
	v_fma_f64 v[110:111], v[150:151], s[4:5], v[100:101]
	v_fma_f64 v[92:93], v[118:119], s[2:3], -v[138:139]
	v_fma_f64 v[108:109], v[108:109], s[0:1], v[116:117]
	v_fma_f64 v[112:113], v[112:113], s[20:21], v[146:147]
	v_add_f64 v[152:153], v[96:97], v[142:143]
	v_add_f64 v[106:107], v[106:107], v[142:143]
	v_fma_f64 v[118:119], v[144:145], s[4:5], v[102:103]
	v_add_f64 v[140:141], v[80:81], v[130:131]
	v_add_f64 v[100:101], v[110:111], v[104:105]
	v_add_f64 v[104:105], v[104:105], -v[110:111]
	v_fma_f64 v[110:111], v[114:115], s[0:1], v[132:133]
	v_fma_f64 v[114:115], v[136:137], s[20:21], v[138:139]
	v_add_f64 v[116:117], v[108:109], v[134:135]
	v_fma_f64 v[132:133], v[144:145], s[4:5], v[112:113]
	v_add_f64 v[102:103], v[106:107], -v[118:119]
	v_add_f64 v[106:107], v[118:119], v[106:107]
	v_add_f64 v[134:135], v[84:85], v[124:125]
	v_fma_f64 v[96:97], v[150:151], s[4:5], v[92:93]
	v_add_f64 v[118:119], v[110:111], v[142:143]
	v_fma_f64 v[114:115], v[150:151], s[4:5], v[114:115]
	v_fma_f64 v[92:93], v[148:149], s[2:3], -v[146:147]
	v_add_f64 v[136:137], v[86:87], v[120:121]
	v_add_f64 v[142:143], v[88:89], v[126:127]
	v_add_f64 v[120:121], v[120:121], -v[86:87]
	v_add_f64 v[110:111], v[118:119], -v[132:133]
	v_add_f64 v[108:109], v[114:115], v[116:117]
	v_add_f64 v[112:113], v[116:117], -v[114:115]
	v_add_f64 v[114:115], v[132:133], v[118:119]
	v_add_f64 v[132:133], v[82:83], v[128:129]
	v_fma_f64 v[154:155], v[144:145], s[4:5], v[92:93]
	v_add_f64 v[144:145], v[90:91], v[122:123]
	v_add_f64 v[128:129], v[82:83], -v[128:129]
	v_add_f64 v[82:83], v[88:89], -v[126:127]
	;; [unrolled: 1-line block ×5, first 2 shown]
	v_add_f64 v[116:117], v[134:135], v[132:133]
	v_add_f64 v[122:123], v[134:135], -v[132:133]
	v_add_f64 v[124:125], v[136:137], -v[134:135]
	;; [unrolled: 1-line block ×4, first 2 shown]
	v_add_f64 v[94:95], v[154:155], v[152:153]
	v_add_f64 v[134:135], v[82:83], -v[90:91]
	v_add_f64 v[96:97], v[96:97], v[98:99]
	v_add_f64 v[138:139], v[136:137], v[116:117]
	v_add_f64 v[116:117], v[142:143], v[140:141]
	v_add_f64 v[98:99], v[152:153], -v[154:155]
	v_add_f64 v[126:127], v[142:143], -v[140:141]
	;; [unrolled: 1-line block ×4, first 2 shown]
	v_add_f64 v[86:87], v[88:89], v[82:83]
	v_add_f64 v[148:149], v[120:121], v[80:81]
	v_add_f64 v[152:153], v[80:81], -v[128:129]
	v_add_f64 v[146:147], v[144:145], v[116:117]
	ds_read_b128 v[116:119], v192 offset:1792
	v_add_f64 v[136:137], v[140:141], -v[144:145]
	v_add_f64 v[140:141], v[90:91], -v[88:89]
	v_mul_f64 v[132:133], v[132:133], s[22:23]
	v_mul_f64 v[88:89], v[134:135], s[2:3]
	s_waitcnt lgkmcnt(0)
	v_add_f64 v[116:117], v[116:117], v[138:139]
	v_mul_f64 v[142:143], v[84:85], s[18:19]
	v_add_f64 v[118:119], v[118:119], v[146:147]
	v_mul_f64 v[82:83], v[124:125], s[0:1]
	v_mul_f64 v[84:85], v[130:131], s[0:1]
	v_add_f64 v[150:151], v[120:121], -v[80:81]
	v_add_f64 v[148:149], v[148:149], v[128:129]
	v_add_f64 v[154:155], v[86:87], v[90:91]
	v_fma_f64 v[138:139], v[138:139], s[12:13], v[116:117]
	v_add_f64 v[128:129], v[128:129], -v[120:121]
	v_mul_f64 v[136:137], v[136:137], s[22:23]
	v_mul_f64 v[90:91], v[152:153], s[2:3]
	v_fma_f64 v[120:121], v[122:123], s[24:25], -v[132:133]
	v_fma_f64 v[88:89], v[140:141], s[26:27], -v[88:89]
	v_fma_f64 v[146:147], v[146:147], s[12:13], v[118:119]
	v_fma_f64 v[82:83], v[122:123], s[16:17], -v[82:83]
	v_fma_f64 v[84:85], v[126:127], s[16:17], -v[84:85]
	v_mul_f64 v[150:151], v[150:151], s[18:19]
	v_fma_f64 v[80:81], v[134:135], s[2:3], -v[142:143]
	v_fma_f64 v[122:123], v[126:127], s[24:25], -v[136:137]
	;; [unrolled: 1-line block ×3, first 2 shown]
	v_add_f64 v[120:121], v[120:121], v[138:139]
	v_fma_f64 v[126:127], v[154:155], s[4:5], v[88:89]
	v_fma_f64 v[124:125], v[124:125], s[0:1], v[132:133]
	v_add_f64 v[156:157], v[84:85], v[146:147]
	v_fma_f64 v[128:129], v[128:129], s[20:21], v[150:151]
	v_fma_f64 v[84:85], v[154:155], s[4:5], v[80:81]
	v_fma_f64 v[80:81], v[152:153], s[2:3], -v[150:151]
	v_add_f64 v[122:123], v[122:123], v[146:147]
	v_fma_f64 v[134:135], v[148:149], s[4:5], v[90:91]
	v_add_f64 v[88:89], v[126:127], v[120:121]
	v_add_f64 v[120:121], v[120:121], -v[126:127]
	v_fma_f64 v[126:127], v[130:131], s[0:1], v[136:137]
	v_fma_f64 v[130:131], v[140:141], s[20:21], v[142:143]
	v_add_f64 v[86:87], v[82:83], v[138:139]
	v_fma_f64 v[158:159], v[148:149], s[4:5], v[80:81]
	v_add_f64 v[132:133], v[124:125], v[138:139]
	v_add_f64 v[90:91], v[122:123], -v[134:135]
	v_add_f64 v[122:123], v[134:135], v[122:123]
	v_fma_f64 v[136:137], v[148:149], s[4:5], v[128:129]
	v_add_f64 v[134:135], v[126:127], v[146:147]
	v_fma_f64 v[130:131], v[154:155], s[4:5], v[130:131]
	v_add_f64 v[80:81], v[86:87], -v[84:85]
	v_add_f64 v[82:83], v[158:159], v[156:157]
	v_add_f64 v[84:85], v[84:85], v[86:87]
	v_add_f64 v[86:87], v[156:157], -v[158:159]
	v_add_f64 v[126:127], v[134:135], -v[136:137]
	v_add_f64 v[124:125], v[130:131], v[132:133]
	v_add_f64 v[128:129], v[132:133], -v[130:131]
	v_add_f64 v[130:131], v[136:137], v[134:135]
	ds_read_b128 v[132:135], v192 offset:3584
	ds_read_b128 v[136:139], v192 offset:2688
	s_waitcnt lgkmcnt(0)
	; wave barrier
	s_waitcnt lgkmcnt(0)
	ds_write_b128 v192, v[0:3]
	ds_write_b128 v192, v[24:27] offset:896
	ds_write_b128 v192, v[20:23] offset:1792
	;; [unrolled: 1-line block ×20, first 2 shown]
	v_add_f64 v[12:13], v[58:59], v[78:79]
	v_add_f64 v[4:5], v[60:61], v[72:73]
	;; [unrolled: 1-line block ×6, first 2 shown]
	v_add_f64 v[22:23], v[62:63], -v[74:75]
	v_add_f64 v[24:25], v[70:71], -v[66:67]
	;; [unrolled: 1-line block ×3, first 2 shown]
	v_add_f64 v[0:1], v[4:5], v[12:13]
	v_add_f64 v[20:21], v[58:59], -v[78:79]
	v_add_f64 v[28:29], v[60:61], -v[72:73]
	;; [unrolled: 1-line block ×7, first 2 shown]
	v_add_f64 v[6:7], v[14:15], v[0:1]
	v_add_f64 v[0:1], v[8:9], v[16:17]
	v_add_f64 v[4:5], v[24:25], -v[22:23]
	v_add_f64 v[8:9], v[24:25], v[22:23]
	v_add_f64 v[22:23], v[22:23], -v[26:27]
	v_add_f64 v[12:13], v[12:13], -v[14:15]
	;; [unrolled: 1-line block ×5, first 2 shown]
	v_add_f64 v[10:11], v[18:19], v[0:1]
	v_add_f64 v[0:1], v[136:137], v[6:7]
	v_mul_f64 v[64:65], v[4:5], s[18:19]
	v_mul_f64 v[4:5], v[58:59], s[0:1]
	v_add_f64 v[74:75], v[8:9], v[26:27]
	v_mul_f64 v[26:27], v[12:13], s[22:23]
	v_mul_f64 v[12:13], v[22:23], s[2:3]
	;; [unrolled: 1-line block ×3, first 2 shown]
	v_add_f64 v[2:3], v[138:139], v[10:11]
	v_fma_f64 v[66:67], v[6:7], s[12:13], v[0:1]
	v_mul_f64 v[6:7], v[62:63], s[0:1]
	v_fma_f64 v[4:5], v[56:57], s[16:17], -v[4:5]
	v_fma_f64 v[16:17], v[56:57], s[24:25], -v[26:27]
	;; [unrolled: 1-line block ×3, first 2 shown]
	v_fma_f64 v[24:25], v[24:25], s[20:21], v[64:65]
	v_fma_f64 v[68:69], v[10:11], s[12:13], v[2:3]
	v_add_f64 v[10:11], v[30:31], v[28:29]
	v_add_f64 v[28:29], v[28:29], -v[20:21]
	v_add_f64 v[8:9], v[4:5], v[66:67]
	v_fma_f64 v[4:5], v[22:23], s[2:3], -v[64:65]
	v_add_f64 v[16:17], v[16:17], v[66:67]
	v_fma_f64 v[22:23], v[74:75], s[4:5], v[12:13]
	v_fma_f64 v[6:7], v[60:61], s[16:17], -v[6:7]
	v_fma_f64 v[24:25], v[74:75], s[4:5], v[24:25]
	v_add_f64 v[72:73], v[10:11], v[20:21]
	v_add_f64 v[20:21], v[20:21], -v[30:31]
	v_mul_f64 v[30:31], v[14:15], s[22:23]
	v_mul_f64 v[14:15], v[28:29], s[2:3]
	v_fma_f64 v[76:77], v[74:75], s[4:5], v[4:5]
	v_fma_f64 v[4:5], v[28:29], s[2:3], -v[70:71]
	v_add_f64 v[12:13], v[22:23], v[16:17]
	v_add_f64 v[16:17], v[16:17], -v[22:23]
	v_fma_f64 v[22:23], v[58:59], s[0:1], v[26:27]
	v_add_f64 v[10:11], v[6:7], v[68:69]
	v_fma_f64 v[18:19], v[60:61], s[24:25], -v[30:31]
	v_fma_f64 v[14:15], v[20:21], s[26:27], -v[14:15]
	v_fma_f64 v[26:27], v[62:63], s[0:1], v[30:31]
	v_fma_f64 v[20:21], v[20:21], s[20:21], v[70:71]
	;; [unrolled: 1-line block ×3, first 2 shown]
	v_add_f64 v[4:5], v[8:9], -v[76:77]
	v_add_f64 v[8:9], v[76:77], v[8:9]
	v_add_f64 v[18:19], v[18:19], v[68:69]
	v_fma_f64 v[28:29], v[72:73], s[4:5], v[14:15]
	v_add_f64 v[26:27], v[26:27], v[68:69]
	v_fma_f64 v[30:31], v[72:73], s[4:5], v[20:21]
	v_add_f64 v[6:7], v[78:79], v[10:11]
	v_add_f64 v[10:11], v[10:11], -v[78:79]
	v_add_f64 v[14:15], v[18:19], -v[28:29]
	v_add_f64 v[18:19], v[28:29], v[18:19]
	v_add_f64 v[28:29], v[22:23], v[66:67]
	v_add_f64 v[22:23], v[26:27], -v[30:31]
	v_add_f64 v[26:27], v[30:31], v[26:27]
	v_add_f64 v[30:31], v[44:45], -v[38:39]
	;; [unrolled: 2-line block ×3, first 2 shown]
	ds_write_b128 v195, v[0:3] offset:18816
	ds_write_b128 v195, v[20:23] offset:19712
	ds_write_b128 v195, v[12:15] offset:20608
	ds_write_b128 v195, v[4:7] offset:21504
	ds_write_b128 v195, v[8:11] offset:22400
	ds_write_b128 v195, v[16:19] offset:23296
	ds_write_b128 v195, v[24:27] offset:24192
	v_add_f64 v[12:13], v[34:35], v[54:55]
	v_add_f64 v[4:5], v[36:37], v[48:49]
	;; [unrolled: 1-line block ×6, first 2 shown]
	v_add_f64 v[22:23], v[40:41], -v[50:51]
	v_add_f64 v[24:25], v[46:47], -v[42:43]
	;; [unrolled: 1-line block ×3, first 2 shown]
	v_add_f64 v[0:1], v[4:5], v[12:13]
	v_add_f64 v[20:21], v[34:35], -v[54:55]
	v_add_f64 v[28:29], v[36:37], -v[48:49]
	;; [unrolled: 1-line block ×7, first 2 shown]
	v_add_f64 v[6:7], v[14:15], v[0:1]
	v_add_f64 v[0:1], v[8:9], v[16:17]
	;; [unrolled: 1-line block ×3, first 2 shown]
	v_add_f64 v[22:23], v[22:23], -v[26:27]
	v_add_f64 v[12:13], v[12:13], -v[14:15]
	;; [unrolled: 1-line block ×4, first 2 shown]
	v_mul_f64 v[40:41], v[4:5], s[18:19]
	v_mul_f64 v[4:5], v[34:35], s[0:1]
	v_add_f64 v[10:11], v[18:19], v[0:1]
	v_add_f64 v[0:1], v[132:133], v[6:7]
	;; [unrolled: 1-line block ×3, first 2 shown]
	v_add_f64 v[24:25], v[26:27], -v[24:25]
	v_mul_f64 v[26:27], v[12:13], s[22:23]
	v_mul_f64 v[12:13], v[22:23], s[2:3]
	;; [unrolled: 1-line block ×3, first 2 shown]
	v_fma_f64 v[4:5], v[32:33], s[16:17], -v[4:5]
	v_add_f64 v[2:3], v[134:135], v[10:11]
	v_fma_f64 v[42:43], v[6:7], s[12:13], v[0:1]
	v_mul_f64 v[6:7], v[38:39], s[0:1]
	v_fma_f64 v[16:17], v[32:33], s[24:25], -v[26:27]
	v_fma_f64 v[12:13], v[24:25], s[26:27], -v[12:13]
	v_fma_f64 v[24:25], v[24:25], s[20:21], v[40:41]
	v_fma_f64 v[44:45], v[10:11], s[12:13], v[2:3]
	v_add_f64 v[10:11], v[30:31], v[28:29]
	v_add_f64 v[28:29], v[28:29], -v[20:21]
	v_add_f64 v[8:9], v[4:5], v[42:43]
	v_fma_f64 v[4:5], v[22:23], s[2:3], -v[40:41]
	v_add_f64 v[16:17], v[16:17], v[42:43]
	v_fma_f64 v[22:23], v[50:51], s[4:5], v[12:13]
	v_fma_f64 v[24:25], v[50:51], s[4:5], v[24:25]
	v_fma_f64 v[6:7], v[36:37], s[16:17], -v[6:7]
	v_add_f64 v[48:49], v[10:11], v[20:21]
	v_add_f64 v[20:21], v[20:21], -v[30:31]
	v_mul_f64 v[30:31], v[14:15], s[22:23]
	v_mul_f64 v[14:15], v[28:29], s[2:3]
	v_fma_f64 v[52:53], v[50:51], s[4:5], v[4:5]
	v_fma_f64 v[4:5], v[28:29], s[2:3], -v[46:47]
	v_add_f64 v[12:13], v[22:23], v[16:17]
	v_add_f64 v[16:17], v[16:17], -v[22:23]
	v_fma_f64 v[22:23], v[34:35], s[0:1], v[26:27]
	v_add_f64 v[10:11], v[6:7], v[44:45]
	v_fma_f64 v[18:19], v[36:37], s[24:25], -v[30:31]
	v_fma_f64 v[14:15], v[20:21], s[26:27], -v[14:15]
	v_fma_f64 v[20:21], v[20:21], s[20:21], v[46:47]
	v_fma_f64 v[26:27], v[38:39], s[0:1], v[30:31]
	;; [unrolled: 1-line block ×3, first 2 shown]
	v_add_f64 v[4:5], v[8:9], -v[52:53]
	v_add_f64 v[8:9], v[52:53], v[8:9]
	s_mov_b32 s17, 0x3fee6f0e
	v_add_f64 v[18:19], v[18:19], v[44:45]
	v_fma_f64 v[28:29], v[48:49], s[4:5], v[14:15]
	v_fma_f64 v[30:31], v[48:49], s[4:5], v[20:21]
	v_add_f64 v[26:27], v[26:27], v[44:45]
	v_add_f64 v[6:7], v[54:55], v[10:11]
	v_add_f64 v[10:11], v[10:11], -v[54:55]
	s_mov_b32 s4, 0x134454ff
	s_mov_b32 s5, 0xbfee6f0e
	s_mov_b32 s16, s4
	v_add_f64 v[14:15], v[18:19], -v[28:29]
	v_add_f64 v[18:19], v[28:29], v[18:19]
	v_add_f64 v[28:29], v[22:23], v[42:43]
	v_add_f64 v[22:23], v[26:27], -v[30:31]
	v_add_f64 v[26:27], v[30:31], v[26:27]
	s_mov_b32 s0, 0x4755a5e
	s_mov_b32 s1, 0xbfe2cf23
	;; [unrolled: 1-line block ×5, first 2 shown]
	v_add_f64 v[20:21], v[24:25], v[28:29]
	v_add_f64 v[24:25], v[28:29], -v[24:25]
	buffer_load_dword v28, off, s[36:39], 0 offset:1232 ; 4-byte Folded Reload
	s_waitcnt vmcnt(0)
	ds_write_b128 v28, v[0:3] offset:25088
	ds_write_b128 v28, v[20:23] offset:25984
	;; [unrolled: 1-line block ×7, first 2 shown]
	s_waitcnt lgkmcnt(0)
	; wave barrier
	s_waitcnt lgkmcnt(0)
	ds_read_b128 v[0:3], v192 offset:6272
	buffer_load_dword v6, off, s[36:39], 0 offset:1268 ; 4-byte Folded Reload
	buffer_load_dword v7, off, s[36:39], 0 offset:1272 ; 4-byte Folded Reload
	;; [unrolled: 1-line block ×4, first 2 shown]
	s_mov_b32 s13, 0x3fd3c6ef
	s_waitcnt vmcnt(0) lgkmcnt(0)
	v_mul_f64 v[4:5], v[8:9], v[2:3]
	v_fma_f64 v[12:13], v[6:7], v[0:1], v[4:5]
	v_mul_f64 v[0:1], v[8:9], v[0:1]
	v_fma_f64 v[14:15], v[6:7], v[2:3], -v[0:1]
	ds_read_b128 v[0:3], v192 offset:12544
	buffer_load_dword v6, off, s[36:39], 0 offset:1284 ; 4-byte Folded Reload
	buffer_load_dword v7, off, s[36:39], 0 offset:1288 ; 4-byte Folded Reload
	;; [unrolled: 1-line block ×4, first 2 shown]
	s_waitcnt vmcnt(0) lgkmcnt(0)
	v_mul_f64 v[4:5], v[8:9], v[2:3]
	v_fma_f64 v[16:17], v[6:7], v[0:1], v[4:5]
	v_mul_f64 v[0:1], v[8:9], v[0:1]
	v_fma_f64 v[18:19], v[6:7], v[2:3], -v[0:1]
	ds_read_b128 v[0:3], v192 offset:18816
	buffer_load_dword v6, off, s[36:39], 0 offset:1252 ; 4-byte Folded Reload
	buffer_load_dword v7, off, s[36:39], 0 offset:1256 ; 4-byte Folded Reload
	;; [unrolled: 1-line block ×4, first 2 shown]
	s_waitcnt vmcnt(0) lgkmcnt(0)
	v_mul_f64 v[4:5], v[8:9], v[2:3]
	v_fma_f64 v[20:21], v[6:7], v[0:1], v[4:5]
	v_mul_f64 v[0:1], v[8:9], v[0:1]
	v_add_f64 v[134:135], v[16:17], -v[20:21]
	v_fma_f64 v[22:23], v[6:7], v[2:3], -v[0:1]
	ds_read_b128 v[0:3], v192 offset:25088
	buffer_load_dword v6, off, s[36:39], 0 offset:1236 ; 4-byte Folded Reload
	buffer_load_dword v7, off, s[36:39], 0 offset:1240 ; 4-byte Folded Reload
	;; [unrolled: 1-line block ×4, first 2 shown]
	v_add_f64 v[48:49], v[18:19], -v[22:23]
	s_waitcnt vmcnt(0) lgkmcnt(0)
	v_mul_f64 v[4:5], v[8:9], v[2:3]
	v_fma_f64 v[24:25], v[6:7], v[0:1], v[4:5]
	v_mul_f64 v[0:1], v[8:9], v[0:1]
	v_add_f64 v[132:133], v[12:13], -v[24:25]
	v_fma_f64 v[26:27], v[6:7], v[2:3], -v[0:1]
	ds_read_b128 v[0:3], v192 offset:7168
	buffer_load_dword v6, off, s[36:39], 0 offset:1332 ; 4-byte Folded Reload
	buffer_load_dword v7, off, s[36:39], 0 offset:1336 ; 4-byte Folded Reload
	;; [unrolled: 1-line block ×4, first 2 shown]
	v_add_f64 v[30:31], v[14:15], -v[26:27]
	s_waitcnt vmcnt(0) lgkmcnt(0)
	v_mul_f64 v[4:5], v[8:9], v[2:3]
	v_fma_f64 v[32:33], v[6:7], v[0:1], v[4:5]
	v_mul_f64 v[0:1], v[8:9], v[0:1]
	v_fma_f64 v[34:35], v[6:7], v[2:3], -v[0:1]
	ds_read_b128 v[0:3], v192 offset:13440
	buffer_load_dword v6, off, s[36:39], 0 offset:1348 ; 4-byte Folded Reload
	buffer_load_dword v7, off, s[36:39], 0 offset:1352 ; 4-byte Folded Reload
	buffer_load_dword v8, off, s[36:39], 0 offset:1356 ; 4-byte Folded Reload
	buffer_load_dword v9, off, s[36:39], 0 offset:1360 ; 4-byte Folded Reload
	s_waitcnt vmcnt(0) lgkmcnt(0)
	v_mul_f64 v[4:5], v[8:9], v[2:3]
	v_fma_f64 v[36:37], v[6:7], v[0:1], v[4:5]
	v_mul_f64 v[0:1], v[8:9], v[0:1]
	v_fma_f64 v[38:39], v[6:7], v[2:3], -v[0:1]
	ds_read_b128 v[0:3], v192 offset:19712
	buffer_load_dword v6, off, s[36:39], 0 offset:1316 ; 4-byte Folded Reload
	buffer_load_dword v7, off, s[36:39], 0 offset:1320 ; 4-byte Folded Reload
	buffer_load_dword v8, off, s[36:39], 0 offset:1324 ; 4-byte Folded Reload
	buffer_load_dword v9, off, s[36:39], 0 offset:1328 ; 4-byte Folded Reload
	s_waitcnt vmcnt(0) lgkmcnt(0)
	v_mul_f64 v[4:5], v[8:9], v[2:3]
	v_fma_f64 v[40:41], v[6:7], v[0:1], v[4:5]
	v_mul_f64 v[0:1], v[8:9], v[0:1]
	v_add_f64 v[138:139], v[36:37], -v[40:41]
	v_fma_f64 v[42:43], v[6:7], v[2:3], -v[0:1]
	ds_read_b128 v[0:3], v192 offset:25984
	buffer_load_dword v6, off, s[36:39], 0 offset:1300 ; 4-byte Folded Reload
	buffer_load_dword v7, off, s[36:39], 0 offset:1304 ; 4-byte Folded Reload
	buffer_load_dword v8, off, s[36:39], 0 offset:1308 ; 4-byte Folded Reload
	buffer_load_dword v9, off, s[36:39], 0 offset:1312 ; 4-byte Folded Reload
	s_waitcnt vmcnt(0) lgkmcnt(0)
	v_mul_f64 v[4:5], v[8:9], v[2:3]
	v_fma_f64 v[44:45], v[6:7], v[0:1], v[4:5]
	v_mul_f64 v[0:1], v[8:9], v[0:1]
	v_add_f64 v[136:137], v[32:33], -v[44:45]
	v_fma_f64 v[46:47], v[6:7], v[2:3], -v[0:1]
	ds_read_b128 v[0:3], v192 offset:8064
	buffer_load_dword v6, off, s[36:39], 0 offset:1396 ; 4-byte Folded Reload
	buffer_load_dword v7, off, s[36:39], 0 offset:1400 ; 4-byte Folded Reload
	buffer_load_dword v8, off, s[36:39], 0 offset:1404 ; 4-byte Folded Reload
	buffer_load_dword v9, off, s[36:39], 0 offset:1408 ; 4-byte Folded Reload
	s_waitcnt vmcnt(0) lgkmcnt(0)
	v_mul_f64 v[4:5], v[8:9], v[2:3]
	v_fma_f64 v[52:53], v[6:7], v[0:1], v[4:5]
	v_mul_f64 v[0:1], v[8:9], v[0:1]
	v_fma_f64 v[54:55], v[6:7], v[2:3], -v[0:1]
	ds_read_b128 v[0:3], v192 offset:14336
	buffer_load_dword v6, off, s[36:39], 0 offset:1412 ; 4-byte Folded Reload
	buffer_load_dword v7, off, s[36:39], 0 offset:1416 ; 4-byte Folded Reload
	buffer_load_dword v8, off, s[36:39], 0 offset:1420 ; 4-byte Folded Reload
	buffer_load_dword v9, off, s[36:39], 0 offset:1424 ; 4-byte Folded Reload
	s_waitcnt vmcnt(0) lgkmcnt(0)
	v_mul_f64 v[4:5], v[8:9], v[2:3]
	v_fma_f64 v[56:57], v[6:7], v[0:1], v[4:5]
	v_mul_f64 v[0:1], v[8:9], v[0:1]
	v_fma_f64 v[58:59], v[6:7], v[2:3], -v[0:1]
	ds_read_b128 v[0:3], v192 offset:20608
	buffer_load_dword v6, off, s[36:39], 0 offset:1380 ; 4-byte Folded Reload
	buffer_load_dword v7, off, s[36:39], 0 offset:1384 ; 4-byte Folded Reload
	buffer_load_dword v8, off, s[36:39], 0 offset:1388 ; 4-byte Folded Reload
	buffer_load_dword v9, off, s[36:39], 0 offset:1392 ; 4-byte Folded Reload
	s_waitcnt vmcnt(0) lgkmcnt(0)
	v_mul_f64 v[4:5], v[8:9], v[2:3]
	v_fma_f64 v[124:125], v[6:7], v[0:1], v[4:5]
	v_mul_f64 v[0:1], v[8:9], v[0:1]
	v_add_f64 v[142:143], v[56:57], -v[124:125]
	v_fma_f64 v[126:127], v[6:7], v[2:3], -v[0:1]
	ds_read_b128 v[0:3], v192 offset:26880
	buffer_load_dword v6, off, s[36:39], 0 offset:1364 ; 4-byte Folded Reload
	buffer_load_dword v7, off, s[36:39], 0 offset:1368 ; 4-byte Folded Reload
	buffer_load_dword v8, off, s[36:39], 0 offset:1372 ; 4-byte Folded Reload
	buffer_load_dword v9, off, s[36:39], 0 offset:1376 ; 4-byte Folded Reload
	s_waitcnt vmcnt(0) lgkmcnt(0)
	v_mul_f64 v[4:5], v[8:9], v[2:3]
	v_fma_f64 v[128:129], v[6:7], v[0:1], v[4:5]
	v_mul_f64 v[0:1], v[8:9], v[0:1]
	v_add_f64 v[140:141], v[52:53], -v[128:129]
	v_fma_f64 v[130:131], v[6:7], v[2:3], -v[0:1]
	ds_read_b128 v[0:3], v192 offset:8960
	buffer_load_dword v6, off, s[36:39], 0 offset:1460 ; 4-byte Folded Reload
	buffer_load_dword v7, off, s[36:39], 0 offset:1464 ; 4-byte Folded Reload
	buffer_load_dword v8, off, s[36:39], 0 offset:1468 ; 4-byte Folded Reload
	buffer_load_dword v9, off, s[36:39], 0 offset:1472 ; 4-byte Folded Reload
	;; [unrolled: 42-line block ×3, first 2 shown]
	s_waitcnt vmcnt(0) lgkmcnt(0)
	v_mul_f64 v[4:5], v[8:9], v[2:3]
	v_fma_f64 v[96:97], v[6:7], v[0:1], v[4:5]
	v_mul_f64 v[0:1], v[8:9], v[0:1]
	v_fma_f64 v[92:93], v[6:7], v[2:3], -v[0:1]
	ds_read_b128 v[0:3], v192 offset:16128
	buffer_load_dword v6, off, s[36:39], 0 offset:1524 ; 4-byte Folded Reload
	buffer_load_dword v7, off, s[36:39], 0 offset:1528 ; 4-byte Folded Reload
	buffer_load_dword v8, off, s[36:39], 0 offset:1532 ; 4-byte Folded Reload
	buffer_load_dword v9, off, s[36:39], 0 offset:1536 ; 4-byte Folded Reload
	s_waitcnt vmcnt(0) lgkmcnt(0)
	v_mul_f64 v[4:5], v[8:9], v[2:3]
	v_fma_f64 v[102:103], v[6:7], v[0:1], v[4:5]
	v_mul_f64 v[0:1], v[8:9], v[0:1]
	v_fma_f64 v[94:95], v[6:7], v[2:3], -v[0:1]
	ds_read_b128 v[0:3], v192 offset:22400
	buffer_load_dword v6, off, s[36:39], 0 offset:1508 ; 4-byte Folded Reload
	buffer_load_dword v7, off, s[36:39], 0 offset:1512 ; 4-byte Folded Reload
	;; [unrolled: 1-line block ×4, first 2 shown]
	s_waitcnt vmcnt(0) lgkmcnt(0)
	v_mul_f64 v[4:5], v[8:9], v[2:3]
	v_fma_f64 v[100:101], v[6:7], v[0:1], v[4:5]
	v_mul_f64 v[0:1], v[8:9], v[0:1]
	v_add_f64 v[150:151], v[102:103], -v[100:101]
	v_fma_f64 v[98:99], v[6:7], v[2:3], -v[0:1]
	ds_read_b128 v[0:3], v192 offset:28672
	buffer_load_dword v6, off, s[36:39], 0 offset:1492 ; 4-byte Folded Reload
	buffer_load_dword v7, off, s[36:39], 0 offset:1496 ; 4-byte Folded Reload
	buffer_load_dword v8, off, s[36:39], 0 offset:1500 ; 4-byte Folded Reload
	buffer_load_dword v9, off, s[36:39], 0 offset:1504 ; 4-byte Folded Reload
	s_waitcnt vmcnt(0) lgkmcnt(0)
	v_mul_f64 v[4:5], v[8:9], v[2:3]
	v_fma_f64 v[106:107], v[6:7], v[0:1], v[4:5]
	v_mul_f64 v[0:1], v[8:9], v[0:1]
	v_fma_f64 v[104:105], v[6:7], v[2:3], -v[0:1]
	ds_read_b128 v[0:3], v192 offset:10752
	buffer_load_dword v6, off, s[36:39], 0 offset:1604 ; 4-byte Folded Reload
	buffer_load_dword v7, off, s[36:39], 0 offset:1608 ; 4-byte Folded Reload
	buffer_load_dword v8, off, s[36:39], 0 offset:1612 ; 4-byte Folded Reload
	buffer_load_dword v9, off, s[36:39], 0 offset:1616 ; 4-byte Folded Reload
	s_waitcnt vmcnt(0) lgkmcnt(0)
	v_mul_f64 v[4:5], v[8:9], v[2:3]
	v_fma_f64 v[80:81], v[6:7], v[0:1], v[4:5]
	v_mul_f64 v[0:1], v[8:9], v[0:1]
	;; [unrolled: 10-line block ×4, first 2 shown]
	v_add_f64 v[154:155], v[84:85], -v[86:87]
	v_fma_f64 v[82:83], v[6:7], v[2:3], -v[0:1]
	ds_read_b128 v[0:3], v192 offset:29568
	buffer_load_dword v6, off, s[36:39], 0 offset:1556 ; 4-byte Folded Reload
	buffer_load_dword v7, off, s[36:39], 0 offset:1560 ; 4-byte Folded Reload
	;; [unrolled: 1-line block ×4, first 2 shown]
	s_waitcnt vmcnt(0) lgkmcnt(0)
	v_mul_f64 v[4:5], v[8:9], v[2:3]
	v_fma_f64 v[90:91], v[6:7], v[0:1], v[4:5]
	v_mul_f64 v[0:1], v[8:9], v[0:1]
	v_fma_f64 v[88:89], v[6:7], v[2:3], -v[0:1]
	ds_read_b128 v[0:3], v192 offset:11648
	s_waitcnt lgkmcnt(0)
	v_mul_f64 v[4:5], v[198:199], v[2:3]
	v_fma_f64 v[64:65], v[196:197], v[0:1], v[4:5]
	v_mul_f64 v[0:1], v[198:199], v[0:1]
	v_fma_f64 v[60:61], v[196:197], v[2:3], -v[0:1]
	ds_read_b128 v[0:3], v192 offset:17920
	buffer_load_dword v6, off, s[36:39], 0 offset:1652 ; 4-byte Folded Reload
	buffer_load_dword v7, off, s[36:39], 0 offset:1656 ; 4-byte Folded Reload
	;; [unrolled: 1-line block ×4, first 2 shown]
	s_waitcnt vmcnt(0) lgkmcnt(0)
	v_mul_f64 v[4:5], v[8:9], v[2:3]
	v_fma_f64 v[70:71], v[6:7], v[0:1], v[4:5]
	v_mul_f64 v[0:1], v[8:9], v[0:1]
	v_fma_f64 v[62:63], v[6:7], v[2:3], -v[0:1]
	ds_read_b128 v[0:3], v192 offset:24192
	buffer_load_dword v6, off, s[36:39], 0 offset:1636 ; 4-byte Folded Reload
	buffer_load_dword v7, off, s[36:39], 0 offset:1640 ; 4-byte Folded Reload
	;; [unrolled: 1-line block ×4, first 2 shown]
	s_waitcnt vmcnt(0) lgkmcnt(0)
	v_mul_f64 v[4:5], v[8:9], v[2:3]
	v_fma_f64 v[68:69], v[6:7], v[0:1], v[4:5]
	v_mul_f64 v[0:1], v[8:9], v[0:1]
	v_add_f64 v[158:159], v[70:71], -v[68:69]
	v_fma_f64 v[66:67], v[6:7], v[2:3], -v[0:1]
	ds_read_b128 v[0:3], v192 offset:30464
	buffer_load_dword v6, off, s[36:39], 0 offset:1620 ; 4-byte Folded Reload
	buffer_load_dword v7, off, s[36:39], 0 offset:1624 ; 4-byte Folded Reload
	;; [unrolled: 1-line block ×4, first 2 shown]
	s_waitcnt vmcnt(0) lgkmcnt(0)
	v_mul_f64 v[4:5], v[8:9], v[2:3]
	v_fma_f64 v[74:75], v[6:7], v[0:1], v[4:5]
	v_mul_f64 v[0:1], v[8:9], v[0:1]
	v_add_f64 v[4:5], v[26:27], -v[22:23]
	ds_read_b128 v[8:11], v192
	v_fma_f64 v[72:73], v[6:7], v[2:3], -v[0:1]
	v_add_f64 v[0:1], v[12:13], -v[16:17]
	v_add_f64 v[2:3], v[24:25], -v[20:21]
	v_add_f64 v[6:7], v[18:19], v[22:23]
	v_add_f64 v[0:1], v[0:1], v[2:3]
	v_add_f64 v[2:3], v[14:15], -v[18:19]
	s_waitcnt lgkmcnt(0)
	v_fma_f64 v[50:51], v[6:7], -0.5, v[10:11]
	v_add_f64 v[2:3], v[2:3], v[4:5]
	v_add_f64 v[4:5], v[16:17], v[20:21]
	v_fma_f64 v[6:7], v[132:133], s[16:17], v[50:51]
	v_fma_f64 v[50:51], v[132:133], s[4:5], v[50:51]
	v_fma_f64 v[28:29], v[4:5], -0.5, v[8:9]
	v_fma_f64 v[6:7], v[134:135], s[2:3], v[6:7]
	v_fma_f64 v[50:51], v[134:135], s[0:1], v[50:51]
	v_fma_f64 v[4:5], v[30:31], s[4:5], v[28:29]
	v_fma_f64 v[28:29], v[30:31], s[16:17], v[28:29]
	v_fma_f64 v[6:7], v[2:3], s[12:13], v[6:7]
	v_fma_f64 v[2:3], v[2:3], s[12:13], v[50:51]
	v_add_f64 v[50:51], v[14:15], v[26:27]
	v_fma_f64 v[4:5], v[48:49], s[0:1], v[4:5]
	v_fma_f64 v[28:29], v[48:49], s[2:3], v[28:29]
	v_fma_f64 v[50:51], v[50:51], -0.5, v[10:11]
	v_add_f64 v[10:11], v[10:11], v[14:15]
	v_add_f64 v[14:15], v[18:19], -v[14:15]
	v_fma_f64 v[4:5], v[0:1], s[12:13], v[4:5]
	v_fma_f64 v[0:1], v[0:1], s[12:13], v[28:29]
	v_add_f64 v[28:29], v[12:13], v[24:25]
	v_add_f64 v[10:11], v[10:11], v[18:19]
	v_add_f64 v[18:19], v[22:23], -v[26:27]
	v_fma_f64 v[28:29], v[28:29], -0.5, v[8:9]
	v_add_f64 v[8:9], v[8:9], v[12:13]
	v_add_f64 v[12:13], v[16:17], -v[12:13]
	v_add_f64 v[10:11], v[10:11], v[22:23]
	v_fma_f64 v[22:23], v[134:135], s[4:5], v[50:51]
	v_add_f64 v[14:15], v[14:15], v[18:19]
	v_add_f64 v[8:9], v[8:9], v[16:17]
	v_fma_f64 v[16:17], v[48:49], s[16:17], v[28:29]
	v_fma_f64 v[28:29], v[48:49], s[4:5], v[28:29]
	;; [unrolled: 1-line block ×3, first 2 shown]
	v_add_f64 v[10:11], v[10:11], v[26:27]
	v_add_f64 v[26:27], v[38:39], v[42:43]
	;; [unrolled: 1-line block ×3, first 2 shown]
	v_add_f64 v[20:21], v[20:21], -v[24:25]
	v_fma_f64 v[16:17], v[30:31], s[0:1], v[16:17]
	v_fma_f64 v[18:19], v[14:15], s[12:13], v[18:19]
	v_add_f64 v[8:9], v[8:9], v[24:25]
	v_fma_f64 v[24:25], v[134:135], s[16:17], v[50:51]
	v_add_f64 v[12:13], v[12:13], v[20:21]
	v_fma_f64 v[20:21], v[30:31], s[2:3], v[28:29]
	ds_read_b128 v[28:31], v192 offset:896
	v_add_f64 v[50:51], v[34:35], -v[46:47]
	v_fma_f64 v[22:23], v[132:133], s[0:1], v[24:25]
	v_fma_f64 v[16:17], v[12:13], s[12:13], v[16:17]
	v_fma_f64 v[12:13], v[12:13], s[12:13], v[20:21]
	v_add_f64 v[20:21], v[32:33], -v[36:37]
	v_add_f64 v[24:25], v[46:47], -v[42:43]
	;; [unrolled: 1-line block ×3, first 2 shown]
	s_waitcnt lgkmcnt(0)
	v_fma_f64 v[134:135], v[26:27], -0.5, v[30:31]
	v_fma_f64 v[14:15], v[14:15], s[12:13], v[22:23]
	v_add_f64 v[22:23], v[44:45], -v[40:41]
	v_fma_f64 v[26:27], v[136:137], s[16:17], v[134:135]
	v_fma_f64 v[134:135], v[136:137], s[4:5], v[134:135]
	v_add_f64 v[20:21], v[20:21], v[22:23]
	v_add_f64 v[22:23], v[34:35], -v[38:39]
	v_fma_f64 v[26:27], v[138:139], s[2:3], v[26:27]
	v_fma_f64 v[134:135], v[138:139], s[0:1], v[134:135]
	v_add_f64 v[22:23], v[22:23], v[24:25]
	v_add_f64 v[24:25], v[36:37], v[40:41]
	v_fma_f64 v[26:27], v[22:23], s[12:13], v[26:27]
	v_fma_f64 v[48:49], v[24:25], -0.5, v[28:29]
	v_fma_f64 v[22:23], v[22:23], s[12:13], v[134:135]
	v_add_f64 v[134:135], v[34:35], v[46:47]
	v_fma_f64 v[24:25], v[50:51], s[4:5], v[48:49]
	v_fma_f64 v[48:49], v[50:51], s[16:17], v[48:49]
	v_fma_f64 v[134:135], v[134:135], -0.5, v[30:31]
	v_add_f64 v[30:31], v[30:31], v[34:35]
	v_add_f64 v[34:35], v[38:39], -v[34:35]
	v_fma_f64 v[24:25], v[132:133], s[0:1], v[24:25]
	v_fma_f64 v[48:49], v[132:133], s[2:3], v[48:49]
	v_add_f64 v[30:31], v[30:31], v[38:39]
	v_add_f64 v[38:39], v[42:43], -v[46:47]
	v_fma_f64 v[24:25], v[20:21], s[12:13], v[24:25]
	v_fma_f64 v[20:21], v[20:21], s[12:13], v[48:49]
	v_add_f64 v[48:49], v[32:33], v[44:45]
	v_add_f64 v[30:31], v[30:31], v[42:43]
	v_fma_f64 v[42:43], v[138:139], s[4:5], v[134:135]
	v_add_f64 v[34:35], v[34:35], v[38:39]
	v_fma_f64 v[48:49], v[48:49], -0.5, v[28:29]
	v_add_f64 v[28:29], v[28:29], v[32:33]
	v_add_f64 v[32:33], v[36:37], -v[32:33]
	v_fma_f64 v[38:39], v[136:137], s[2:3], v[42:43]
	v_add_f64 v[30:31], v[30:31], v[46:47]
	v_add_f64 v[46:47], v[58:59], v[126:127]
	;; [unrolled: 1-line block ×3, first 2 shown]
	v_fma_f64 v[36:37], v[132:133], s[16:17], v[48:49]
	v_fma_f64 v[48:49], v[132:133], s[4:5], v[48:49]
	;; [unrolled: 1-line block ×3, first 2 shown]
	v_add_f64 v[28:29], v[28:29], v[40:41]
	v_add_f64 v[40:41], v[40:41], -v[44:45]
	v_fma_f64 v[36:37], v[50:51], s[0:1], v[36:37]
	v_add_f64 v[28:29], v[28:29], v[44:45]
	v_fma_f64 v[44:45], v[138:139], s[16:17], v[134:135]
	v_add_f64 v[32:33], v[32:33], v[40:41]
	v_fma_f64 v[40:41], v[50:51], s[2:3], v[48:49]
	ds_read_b128 v[48:51], v192 offset:1792
	v_add_f64 v[134:135], v[54:55], -v[130:131]
	v_fma_f64 v[42:43], v[136:137], s[0:1], v[44:45]
	v_fma_f64 v[36:37], v[32:33], s[12:13], v[36:37]
	;; [unrolled: 1-line block ×3, first 2 shown]
	v_add_f64 v[40:41], v[52:53], -v[56:57]
	v_add_f64 v[44:45], v[130:131], -v[126:127]
	;; [unrolled: 1-line block ×3, first 2 shown]
	s_waitcnt lgkmcnt(0)
	v_fma_f64 v[138:139], v[46:47], -0.5, v[50:51]
	v_fma_f64 v[34:35], v[34:35], s[12:13], v[42:43]
	v_add_f64 v[42:43], v[128:129], -v[124:125]
	v_fma_f64 v[46:47], v[140:141], s[16:17], v[138:139]
	v_fma_f64 v[138:139], v[140:141], s[4:5], v[138:139]
	v_add_f64 v[40:41], v[40:41], v[42:43]
	v_add_f64 v[42:43], v[54:55], -v[58:59]
	v_fma_f64 v[46:47], v[142:143], s[2:3], v[46:47]
	v_fma_f64 v[138:139], v[142:143], s[0:1], v[138:139]
	v_add_f64 v[42:43], v[42:43], v[44:45]
	v_add_f64 v[44:45], v[56:57], v[124:125]
	v_fma_f64 v[46:47], v[42:43], s[12:13], v[46:47]
	v_fma_f64 v[132:133], v[44:45], -0.5, v[48:49]
	v_fma_f64 v[42:43], v[42:43], s[12:13], v[138:139]
	v_add_f64 v[138:139], v[54:55], v[130:131]
	v_fma_f64 v[44:45], v[134:135], s[4:5], v[132:133]
	v_fma_f64 v[132:133], v[134:135], s[16:17], v[132:133]
	v_fma_f64 v[138:139], v[138:139], -0.5, v[50:51]
	v_add_f64 v[50:51], v[50:51], v[54:55]
	v_add_f64 v[54:55], v[58:59], -v[54:55]
	v_fma_f64 v[44:45], v[136:137], s[0:1], v[44:45]
	v_fma_f64 v[132:133], v[136:137], s[2:3], v[132:133]
	v_add_f64 v[50:51], v[50:51], v[58:59]
	v_add_f64 v[58:59], v[126:127], -v[130:131]
	v_fma_f64 v[44:45], v[40:41], s[12:13], v[44:45]
	v_fma_f64 v[40:41], v[40:41], s[12:13], v[132:133]
	v_add_f64 v[132:133], v[52:53], v[128:129]
	v_add_f64 v[50:51], v[50:51], v[126:127]
	v_fma_f64 v[126:127], v[142:143], s[4:5], v[138:139]
	v_add_f64 v[54:55], v[54:55], v[58:59]
	v_fma_f64 v[132:133], v[132:133], -0.5, v[48:49]
	v_add_f64 v[48:49], v[48:49], v[52:53]
	v_add_f64 v[52:53], v[56:57], -v[52:53]
	v_fma_f64 v[58:59], v[140:141], s[2:3], v[126:127]
	v_add_f64 v[50:51], v[50:51], v[130:131]
	v_add_f64 v[130:131], v[110:111], v[114:115]
	;; [unrolled: 1-line block ×3, first 2 shown]
	v_fma_f64 v[56:57], v[136:137], s[16:17], v[132:133]
	v_fma_f64 v[132:133], v[136:137], s[4:5], v[132:133]
	;; [unrolled: 1-line block ×3, first 2 shown]
	v_add_f64 v[48:49], v[48:49], v[124:125]
	v_add_f64 v[124:125], v[124:125], -v[128:129]
	v_fma_f64 v[56:57], v[134:135], s[0:1], v[56:57]
	v_add_f64 v[48:49], v[48:49], v[128:129]
	v_fma_f64 v[128:129], v[142:143], s[16:17], v[138:139]
	v_add_f64 v[52:53], v[52:53], v[124:125]
	v_fma_f64 v[124:125], v[134:135], s[2:3], v[132:133]
	v_add_f64 v[138:139], v[108:109], -v[120:121]
	v_fma_f64 v[126:127], v[140:141], s[0:1], v[128:129]
	v_fma_f64 v[56:57], v[52:53], s[12:13], v[56:57]
	;; [unrolled: 1-line block ×3, first 2 shown]
	v_add_f64 v[124:125], v[112:113], -v[116:117]
	v_add_f64 v[128:129], v[116:117], v[118:119]
	v_add_f64 v[140:141], v[110:111], -v[114:115]
	v_fma_f64 v[54:55], v[54:55], s[12:13], v[126:127]
	v_add_f64 v[126:127], v[122:123], -v[118:119]
	v_add_f64 v[132:133], v[124:125], v[126:127]
	v_add_f64 v[124:125], v[108:109], -v[110:111]
	v_add_f64 v[126:127], v[120:121], -v[114:115]
	v_add_f64 v[134:135], v[124:125], v[126:127]
	ds_read_b128 v[124:127], v192 offset:2688
	s_waitcnt lgkmcnt(0)
	v_fma_f64 v[136:137], v[128:129], -0.5, v[124:125]
	v_fma_f64 v[142:143], v[130:131], -0.5, v[126:127]
	v_fma_f64 v[128:129], v[138:139], s[4:5], v[136:137]
	v_fma_f64 v[130:131], v[144:145], s[16:17], v[142:143]
	;; [unrolled: 1-line block ×12, first 2 shown]
	v_add_f64 v[136:137], v[112:113], v[122:123]
	v_add_f64 v[142:143], v[108:109], v[120:121]
	v_fma_f64 v[136:137], v[136:137], -0.5, v[124:125]
	v_fma_f64 v[142:143], v[142:143], -0.5, v[126:127]
	v_add_f64 v[124:125], v[124:125], v[112:113]
	v_add_f64 v[126:127], v[126:127], v[108:109]
	v_add_f64 v[112:113], v[116:117], -v[112:113]
	v_add_f64 v[108:109], v[110:111], -v[108:109]
	v_fma_f64 v[148:149], v[140:141], s[16:17], v[136:137]
	v_fma_f64 v[136:137], v[140:141], s[4:5], v[136:137]
	v_add_f64 v[124:125], v[124:125], v[116:117]
	v_add_f64 v[116:117], v[126:127], v[110:111]
	v_add_f64 v[140:141], v[118:119], -v[122:123]
	v_add_f64 v[110:111], v[114:115], -v[120:121]
	v_add_f64 v[124:125], v[124:125], v[118:119]
	v_add_f64 v[126:127], v[116:117], v[114:115]
	v_fma_f64 v[114:115], v[146:147], s[4:5], v[142:143]
	v_add_f64 v[112:113], v[112:113], v[140:141]
	v_add_f64 v[116:117], v[124:125], v[122:123]
	;; [unrolled: 1-line block ×3, first 2 shown]
	v_fma_f64 v[120:121], v[146:147], s[16:17], v[142:143]
	v_fma_f64 v[122:123], v[138:139], s[0:1], v[148:149]
	v_add_f64 v[126:127], v[108:109], v[110:111]
	v_fma_f64 v[110:111], v[144:145], s[2:3], v[114:115]
	v_fma_f64 v[124:125], v[138:139], s[2:3], v[136:137]
	v_add_f64 v[142:143], v[92:93], -v[104:105]
	v_add_f64 v[148:149], v[96:97], -v[106:107]
	v_fma_f64 v[114:115], v[144:145], s[0:1], v[120:121]
	v_fma_f64 v[108:109], v[112:113], s[12:13], v[122:123]
	v_add_f64 v[120:121], v[96:97], -v[102:103]
	v_add_f64 v[122:123], v[106:107], -v[100:101]
	v_fma_f64 v[110:111], v[126:127], s[12:13], v[110:111]
	v_fma_f64 v[112:113], v[112:113], s[12:13], v[124:125]
	v_add_f64 v[124:125], v[102:103], v[100:101]
	v_add_f64 v[144:145], v[94:95], -v[98:99]
	v_fma_f64 v[114:115], v[126:127], s[12:13], v[114:115]
	v_add_f64 v[126:127], v[94:95], v[98:99]
	v_add_f64 v[136:137], v[120:121], v[122:123]
	v_add_f64 v[120:121], v[92:93], -v[94:95]
	v_add_f64 v[122:123], v[104:105], -v[98:99]
	v_add_f64 v[138:139], v[120:121], v[122:123]
	ds_read_b128 v[120:123], v192 offset:3584
	s_waitcnt lgkmcnt(0)
	v_fma_f64 v[140:141], v[124:125], -0.5, v[120:121]
	v_fma_f64 v[146:147], v[126:127], -0.5, v[122:123]
	v_fma_f64 v[124:125], v[142:143], s[4:5], v[140:141]
	v_fma_f64 v[126:127], v[148:149], s[16:17], v[146:147]
	;; [unrolled: 1-line block ×12, first 2 shown]
	v_add_f64 v[140:141], v[96:97], v[106:107]
	v_add_f64 v[146:147], v[92:93], v[104:105]
	v_fma_f64 v[140:141], v[140:141], -0.5, v[120:121]
	v_fma_f64 v[146:147], v[146:147], -0.5, v[122:123]
	v_add_f64 v[120:121], v[120:121], v[96:97]
	v_add_f64 v[122:123], v[122:123], v[92:93]
	v_add_f64 v[96:97], v[102:103], -v[96:97]
	v_add_f64 v[92:93], v[94:95], -v[92:93]
	v_fma_f64 v[152:153], v[144:145], s[16:17], v[140:141]
	v_fma_f64 v[140:141], v[144:145], s[4:5], v[140:141]
	v_add_f64 v[120:121], v[120:121], v[102:103]
	v_add_f64 v[102:103], v[122:123], v[94:95]
	v_add_f64 v[122:123], v[100:101], -v[106:107]
	v_add_f64 v[94:95], v[98:99], -v[104:105]
	v_add_f64 v[120:121], v[120:121], v[100:101]
	v_add_f64 v[102:103], v[102:103], v[98:99]
	v_fma_f64 v[98:99], v[150:151], s[4:5], v[146:147]
	v_add_f64 v[96:97], v[96:97], v[122:123]
	v_add_f64 v[122:123], v[92:93], v[94:95]
	;; [unrolled: 1-line block ×4, first 2 shown]
	v_fma_f64 v[104:105], v[150:151], s[16:17], v[146:147]
	v_fma_f64 v[106:107], v[142:143], s[0:1], v[152:153]
	;; [unrolled: 1-line block ×4, first 2 shown]
	v_add_f64 v[146:147], v[76:77], -v[88:89]
	v_add_f64 v[152:153], v[80:81], -v[90:91]
	v_fma_f64 v[98:99], v[148:149], s[0:1], v[104:105]
	v_fma_f64 v[92:93], v[96:97], s[12:13], v[106:107]
	v_add_f64 v[104:105], v[80:81], -v[84:85]
	v_add_f64 v[106:107], v[90:91], -v[86:87]
	v_fma_f64 v[94:95], v[122:123], s[12:13], v[94:95]
	v_fma_f64 v[96:97], v[96:97], s[12:13], v[120:121]
	v_add_f64 v[120:121], v[84:85], v[86:87]
	v_add_f64 v[148:149], v[78:79], -v[82:83]
	v_fma_f64 v[98:99], v[122:123], s[12:13], v[98:99]
	v_add_f64 v[122:123], v[78:79], v[82:83]
	v_add_f64 v[140:141], v[104:105], v[106:107]
	v_add_f64 v[104:105], v[76:77], -v[78:79]
	v_add_f64 v[106:107], v[88:89], -v[82:83]
	v_add_f64 v[142:143], v[104:105], v[106:107]
	ds_read_b128 v[104:107], v192 offset:4480
	s_waitcnt lgkmcnt(0)
	v_fma_f64 v[144:145], v[120:121], -0.5, v[104:105]
	v_fma_f64 v[150:151], v[122:123], -0.5, v[106:107]
	v_fma_f64 v[120:121], v[146:147], s[4:5], v[144:145]
	v_fma_f64 v[122:123], v[152:153], s[16:17], v[150:151]
	;; [unrolled: 1-line block ×12, first 2 shown]
	v_add_f64 v[144:145], v[80:81], v[90:91]
	v_add_f64 v[150:151], v[76:77], v[88:89]
	v_fma_f64 v[144:145], v[144:145], -0.5, v[104:105]
	v_fma_f64 v[150:151], v[150:151], -0.5, v[106:107]
	v_add_f64 v[104:105], v[104:105], v[80:81]
	v_add_f64 v[106:107], v[106:107], v[76:77]
	v_add_f64 v[80:81], v[84:85], -v[80:81]
	v_add_f64 v[76:77], v[78:79], -v[76:77]
	v_fma_f64 v[156:157], v[148:149], s[16:17], v[144:145]
	v_fma_f64 v[144:145], v[148:149], s[4:5], v[144:145]
	v_add_f64 v[104:105], v[104:105], v[84:85]
	v_add_f64 v[84:85], v[106:107], v[78:79]
	v_add_f64 v[148:149], v[86:87], -v[90:91]
	v_add_f64 v[78:79], v[82:83], -v[88:89]
	v_add_f64 v[104:105], v[104:105], v[86:87]
	v_add_f64 v[106:107], v[84:85], v[82:83]
	v_fma_f64 v[82:83], v[154:155], s[4:5], v[150:151]
	v_add_f64 v[80:81], v[80:81], v[148:149]
	v_add_f64 v[84:85], v[104:105], v[90:91]
	;; [unrolled: 1-line block ×3, first 2 shown]
	v_fma_f64 v[88:89], v[154:155], s[16:17], v[150:151]
	v_fma_f64 v[90:91], v[146:147], s[0:1], v[156:157]
	v_add_f64 v[106:107], v[76:77], v[78:79]
	v_fma_f64 v[78:79], v[152:153], s[2:3], v[82:83]
	v_fma_f64 v[104:105], v[146:147], s[2:3], v[144:145]
	v_add_f64 v[150:151], v[60:61], -v[72:73]
	v_add_f64 v[156:157], v[64:65], -v[74:75]
	v_fma_f64 v[82:83], v[152:153], s[0:1], v[88:89]
	v_fma_f64 v[76:77], v[80:81], s[12:13], v[90:91]
	v_add_f64 v[88:89], v[64:65], -v[70:71]
	v_add_f64 v[90:91], v[74:75], -v[68:69]
	v_fma_f64 v[78:79], v[106:107], s[12:13], v[78:79]
	v_fma_f64 v[80:81], v[80:81], s[12:13], v[104:105]
	v_add_f64 v[104:105], v[70:71], v[68:69]
	v_add_f64 v[152:153], v[62:63], -v[66:67]
	v_fma_f64 v[82:83], v[106:107], s[12:13], v[82:83]
	v_add_f64 v[106:107], v[62:63], v[66:67]
	v_add_f64 v[144:145], v[88:89], v[90:91]
	v_add_f64 v[88:89], v[60:61], -v[62:63]
	v_add_f64 v[90:91], v[72:73], -v[66:67]
	v_add_f64 v[146:147], v[88:89], v[90:91]
	ds_read_b128 v[88:91], v192 offset:5376
	ds_write_b128 v192, v[8:11]
	ds_write_b128 v192, v[4:7] offset:6272
	ds_write_b128 v192, v[16:19] offset:12544
	;; [unrolled: 1-line block ×7, first 2 shown]
	buffer_load_dword v0, off, s[36:39], 0 offset:36 ; 4-byte Folded Reload
	buffer_load_dword v1, off, s[36:39], 0 offset:40 ; 4-byte Folded Reload
	s_waitcnt lgkmcnt(8)
	v_fma_f64 v[148:149], v[104:105], -0.5, v[88:89]
	v_fma_f64 v[154:155], v[106:107], -0.5, v[90:91]
	v_fma_f64 v[104:105], v[150:151], s[4:5], v[148:149]
	v_fma_f64 v[106:107], v[156:157], s[16:17], v[154:155]
	;; [unrolled: 1-line block ×12, first 2 shown]
	v_add_f64 v[148:149], v[64:65], v[74:75]
	v_add_f64 v[154:155], v[60:61], v[72:73]
	v_fma_f64 v[148:149], v[148:149], -0.5, v[88:89]
	v_fma_f64 v[154:155], v[154:155], -0.5, v[90:91]
	v_add_f64 v[88:89], v[88:89], v[64:65]
	v_add_f64 v[90:91], v[90:91], v[60:61]
	v_add_f64 v[64:65], v[70:71], -v[64:65]
	v_add_f64 v[60:61], v[62:63], -v[60:61]
	v_fma_f64 v[160:161], v[152:153], s[16:17], v[148:149]
	v_fma_f64 v[148:149], v[152:153], s[4:5], v[148:149]
	v_add_f64 v[88:89], v[88:89], v[70:71]
	v_add_f64 v[70:71], v[90:91], v[62:63]
	v_add_f64 v[90:91], v[68:69], -v[74:75]
	v_add_f64 v[62:63], v[66:67], -v[72:73]
	v_add_f64 v[88:89], v[88:89], v[68:69]
	v_add_f64 v[70:71], v[70:71], v[66:67]
	v_fma_f64 v[66:67], v[158:159], s[4:5], v[154:155]
	v_add_f64 v[64:65], v[64:65], v[90:91]
	v_add_f64 v[90:91], v[60:61], v[62:63]
	;; [unrolled: 1-line block ×4, first 2 shown]
	v_fma_f64 v[72:73], v[158:159], s[16:17], v[154:155]
	v_fma_f64 v[74:75], v[150:151], s[0:1], v[160:161]
	;; [unrolled: 1-line block ×4, first 2 shown]
	s_mov_b32 s2, 0xec259dc8
	s_mov_b32 s3, 0x3f40b7e6
	v_fma_f64 v[66:67], v[156:157], s[0:1], v[72:73]
	v_fma_f64 v[60:61], v[64:65], s[12:13], v[74:75]
	;; [unrolled: 1-line block ×4, first 2 shown]
	s_waitcnt vmcnt(1)
	v_mov_b32_e32 v5, v0
	v_mad_u64_u32 v[16:17], s[0:1], s10, v5, 0
	v_fma_f64 v[66:67], v[90:91], s[12:13], v[66:67]
	ds_write_b128 v192, v[32:35] offset:19712
	ds_write_b128 v192, v[20:23] offset:25984
	;; [unrolled: 1-line block ×27, first 2 shown]
	s_waitcnt lgkmcnt(0)
	; wave barrier
	s_waitcnt vmcnt(0) lgkmcnt(0)
	ds_read_b128 v[0:3], v192
	buffer_load_dword v18, off, s[36:39], 0 offset:380 ; 4-byte Folded Reload
	buffer_load_dword v19, off, s[36:39], 0 offset:384 ; 4-byte Folded Reload
	;; [unrolled: 1-line block ×4, first 2 shown]
	v_mov_b32_e32 v4, v17
	v_mad_u64_u32 v[10:11], s[0:1], s11, v5, v[4:5]
	ds_read_b128 v[4:7], v192 offset:896
	s_mul_i32 s10, s8, 0xffffa7a0
	v_mov_b32_e32 v17, v10
	s_waitcnt vmcnt(0) lgkmcnt(1)
	v_mul_f64 v[8:9], v[20:21], v[2:3]
	v_mul_f64 v[11:12], v[20:21], v[0:1]
	v_mad_u64_u32 v[20:21], s[0:1], s8, v193, 0
	v_fma_f64 v[0:1], v[18:19], v[0:1], v[8:9]
	v_mov_b32_e32 v8, v21
	v_fma_f64 v[2:3], v[18:19], v[2:3], -v[11:12]
	ds_read_b128 v[12:15], v192 offset:7840
	v_mad_u64_u32 v[18:19], s[0:1], s9, v193, v[8:9]
	v_mul_f64 v[8:9], v[0:1], s[2:3]
	v_mov_b32_e32 v21, v18
	v_lshlrev_b64 v[0:1], 4, v[16:17]
	ds_read_b128 v[16:19], v192 offset:8736
	buffer_load_dword v26, off, s[36:39], 0 offset:124 ; 4-byte Folded Reload
	buffer_load_dword v27, off, s[36:39], 0 offset:128 ; 4-byte Folded Reload
	;; [unrolled: 1-line block ×4, first 2 shown]
	v_mul_f64 v[10:11], v[2:3], s[2:3]
	v_mov_b32_e32 v3, s15
	v_add_co_u32_e64 v2, s[0:1], s14, v0
	v_addc_co_u32_e64 v3, s[0:1], v3, v1, s[0:1]
	v_lshlrev_b64 v[0:1], 4, v[20:21]
	s_waitcnt vmcnt(0) lgkmcnt(1)
	v_mul_f64 v[22:23], v[28:29], v[14:15]
	v_mul_f64 v[24:25], v[28:29], v[12:13]
	v_add_co_u32_e64 v28, s[0:1], v2, v0
	v_addc_co_u32_e64 v29, s[0:1], v3, v1, s[0:1]
	global_store_dwordx4 v[28:29], v[8:11], off
	ds_read_b128 v[8:11], v192 offset:15680
	v_fma_f64 v[12:13], v[26:27], v[12:13], v[22:23]
	ds_read_b128 v[20:23], v192 offset:16576
	buffer_load_dword v34, off, s[36:39], 0 offset:140 ; 4-byte Folded Reload
	buffer_load_dword v35, off, s[36:39], 0 offset:144 ; 4-byte Folded Reload
	;; [unrolled: 1-line block ×4, first 2 shown]
	v_fma_f64 v[14:15], v[26:27], v[14:15], -v[24:25]
	ds_read_b128 v[24:27], v192 offset:23520
	s_mul_i32 s0, s9, 0x1ea
	s_mul_hi_u32 s1, s8, 0x1ea
	s_add_i32 s1, s1, s0
	v_mul_f64 v[12:13], v[12:13], s[2:3]
	s_mul_i32 s0, s8, 0x1ea
	s_lshl_b64 s[4:5], s[0:1], 4
	v_mul_f64 v[14:15], v[14:15], s[2:3]
	v_mov_b32_e32 v1, s5
	v_add_co_u32_e64 v28, s[0:1], s4, v28
	v_addc_co_u32_e64 v29, s[0:1], v29, v1, s[0:1]
	s_waitcnt vmcnt(0) lgkmcnt(2)
	v_mul_f64 v[30:31], v[36:37], v[10:11]
	v_mul_f64 v[32:33], v[36:37], v[8:9]
	v_fma_f64 v[30:31], v[34:35], v[8:9], v[30:31]
	v_fma_f64 v[32:33], v[34:35], v[10:11], -v[32:33]
	ds_read_b128 v[8:11], v192 offset:24416
	buffer_load_dword v38, off, s[36:39], 0 offset:172 ; 4-byte Folded Reload
	buffer_load_dword v39, off, s[36:39], 0 offset:176 ; 4-byte Folded Reload
	;; [unrolled: 1-line block ×4, first 2 shown]
	s_waitcnt vmcnt(0) lgkmcnt(1)
	v_mul_f64 v[34:35], v[40:41], v[26:27]
	v_mul_f64 v[36:37], v[40:41], v[24:25]
	global_store_dwordx4 v[28:29], v[12:15], off
	v_add_co_u32_e64 v28, s[0:1], s4, v28
	v_mul_f64 v[12:13], v[30:31], s[2:3]
	v_mul_f64 v[14:15], v[32:33], s[2:3]
	v_addc_co_u32_e64 v29, s[0:1], v29, v1, s[0:1]
	v_fma_f64 v[24:25], v[38:39], v[24:25], v[34:35]
	v_fma_f64 v[26:27], v[38:39], v[26:27], -v[36:37]
	buffer_load_dword v34, off, s[36:39], 0 offset:220 ; 4-byte Folded Reload
	buffer_load_dword v35, off, s[36:39], 0 offset:224 ; 4-byte Folded Reload
	;; [unrolled: 1-line block ×4, first 2 shown]
	v_mul_f64 v[24:25], v[24:25], s[2:3]
	v_mul_f64 v[26:27], v[26:27], s[2:3]
	global_store_dwordx4 v[28:29], v[12:15], off
	s_waitcnt vmcnt(1)
	v_mul_f64 v[30:31], v[36:37], v[6:7]
	v_add_co_u32_e64 v12, s[0:1], s4, v28
	v_addc_co_u32_e64 v13, s[0:1], v29, v1, s[0:1]
	global_store_dwordx4 v[12:13], v[24:27], off
	buffer_load_dword v26, off, s[36:39], 0 offset:268 ; 4-byte Folded Reload
	s_nop 0
	buffer_load_dword v27, off, s[36:39], 0 offset:272 ; 4-byte Folded Reload
	buffer_load_dword v28, off, s[36:39], 0 offset:276 ; 4-byte Folded Reload
	;; [unrolled: 1-line block ×3, first 2 shown]
	v_mul_f64 v[32:33], v[36:37], v[4:5]
	v_fma_f64 v[4:5], v[34:35], v[4:5], v[30:31]
	s_mul_hi_u32 s1, s8, 0xffffa7a0
	s_mul_i32 s0, s9, 0xffffa7a0
	s_sub_i32 s11, s1, s8
	s_add_i32 s11, s11, s0
	v_mov_b32_e32 v0, s11
	v_add_co_u32_e64 v12, s[0:1], s10, v12
	v_fma_f64 v[6:7], v[34:35], v[6:7], -v[32:33]
	v_mul_f64 v[4:5], v[4:5], s[2:3]
	v_addc_co_u32_e64 v13, s[0:1], v13, v0, s[0:1]
	v_mul_f64 v[6:7], v[6:7], s[2:3]
	s_waitcnt vmcnt(0)
	v_mul_f64 v[14:15], v[28:29], v[18:19]
	v_mul_f64 v[24:25], v[28:29], v[16:17]
	v_fma_f64 v[14:15], v[26:27], v[16:17], v[14:15]
	v_fma_f64 v[16:17], v[26:27], v[18:19], -v[24:25]
	buffer_load_dword v26, off, s[36:39], 0 offset:300 ; 4-byte Folded Reload
	buffer_load_dword v27, off, s[36:39], 0 offset:304 ; 4-byte Folded Reload
	;; [unrolled: 1-line block ×4, first 2 shown]
	s_waitcnt vmcnt(0)
	v_mul_f64 v[18:19], v[28:29], v[22:23]
	v_mul_f64 v[24:25], v[28:29], v[20:21]
	global_store_dwordx4 v[12:13], v[4:7], off
	s_nop 0
	v_mul_f64 v[4:5], v[14:15], s[2:3]
	v_mul_f64 v[6:7], v[16:17], s[2:3]
	v_fma_f64 v[14:15], v[26:27], v[20:21], v[18:19]
	v_fma_f64 v[16:17], v[26:27], v[22:23], -v[24:25]
	buffer_load_dword v24, off, s[36:39], 0 offset:284 ; 4-byte Folded Reload
	buffer_load_dword v25, off, s[36:39], 0 offset:288 ; 4-byte Folded Reload
	;; [unrolled: 1-line block ×4, first 2 shown]
	v_add_co_u32_e64 v22, s[0:1], s4, v12
	v_addc_co_u32_e64 v23, s[0:1], v13, v1, s[0:1]
	global_store_dwordx4 v[22:23], v[4:7], off
	v_add_co_u32_e64 v22, s[0:1], s4, v22
	v_mul_f64 v[4:5], v[14:15], s[2:3]
	ds_read_b128 v[12:15], v192 offset:1792
	v_mul_f64 v[6:7], v[16:17], s[2:3]
	v_addc_co_u32_e64 v23, s[0:1], v23, v1, s[0:1]
	s_waitcnt vmcnt(1) lgkmcnt(1)
	v_mul_f64 v[18:19], v[26:27], v[10:11]
	v_mul_f64 v[20:21], v[26:27], v[8:9]
	v_fma_f64 v[16:17], v[24:25], v[8:9], v[18:19]
	v_fma_f64 v[20:21], v[24:25], v[10:11], -v[20:21]
	ds_read_b128 v[8:11], v192 offset:2688
	buffer_load_dword v28, off, s[36:39], 0 offset:156 ; 4-byte Folded Reload
	buffer_load_dword v29, off, s[36:39], 0 offset:160 ; 4-byte Folded Reload
	;; [unrolled: 1-line block ×4, first 2 shown]
	s_waitcnt vmcnt(0) lgkmcnt(1)
	v_mul_f64 v[24:25], v[30:31], v[14:15]
	v_mul_f64 v[26:27], v[30:31], v[12:13]
	global_store_dwordx4 v[22:23], v[4:7], off
	v_add_co_u32_e64 v30, s[0:1], s4, v22
	v_mul_f64 v[4:5], v[16:17], s[2:3]
	ds_read_b128 v[16:19], v192 offset:9632
	v_mul_f64 v[6:7], v[20:21], s[2:3]
	v_fma_f64 v[20:21], v[28:29], v[12:13], v[24:25]
	v_fma_f64 v[24:25], v[28:29], v[14:15], -v[26:27]
	ds_read_b128 v[12:15], v192 offset:10528
	buffer_load_dword v32, off, s[36:39], 0 offset:108 ; 4-byte Folded Reload
	buffer_load_dword v33, off, s[36:39], 0 offset:112 ; 4-byte Folded Reload
	;; [unrolled: 1-line block ×4, first 2 shown]
	v_addc_co_u32_e64 v31, s[0:1], v23, v1, s[0:1]
	global_store_dwordx4 v[30:31], v[4:7], off
	s_nop 0
	v_mul_f64 v[4:5], v[20:21], s[2:3]
	v_mul_f64 v[6:7], v[24:25], s[2:3]
	ds_read_b128 v[20:23], v192 offset:17472
	v_add_co_u32_e64 v30, s[0:1], s10, v30
	v_addc_co_u32_e64 v31, s[0:1], v31, v0, s[0:1]
	s_waitcnt vmcnt(1) lgkmcnt(2)
	v_mul_f64 v[26:27], v[34:35], v[18:19]
	v_mul_f64 v[28:29], v[34:35], v[16:17]
	v_fma_f64 v[24:25], v[32:33], v[16:17], v[26:27]
	v_fma_f64 v[28:29], v[32:33], v[18:19], -v[28:29]
	ds_read_b128 v[16:19], v192 offset:18368
	buffer_load_dword v36, off, s[36:39], 0 offset:60 ; 4-byte Folded Reload
	buffer_load_dword v37, off, s[36:39], 0 offset:64 ; 4-byte Folded Reload
	;; [unrolled: 1-line block ×4, first 2 shown]
	s_waitcnt vmcnt(0) lgkmcnt(1)
	v_mul_f64 v[32:33], v[38:39], v[22:23]
	v_mul_f64 v[34:35], v[38:39], v[20:21]
	global_store_dwordx4 v[30:31], v[4:7], off
	v_add_co_u32_e64 v30, s[0:1], s4, v30
	v_mul_f64 v[4:5], v[24:25], s[2:3]
	ds_read_b128 v[24:27], v192 offset:25312
	v_mul_f64 v[6:7], v[28:29], s[2:3]
	v_fma_f64 v[28:29], v[36:37], v[20:21], v[32:33]
	v_fma_f64 v[32:33], v[36:37], v[22:23], -v[34:35]
	ds_read_b128 v[20:23], v192 offset:26208
	buffer_load_dword v38, off, s[36:39], 0 offset:92 ; 4-byte Folded Reload
	buffer_load_dword v39, off, s[36:39], 0 offset:96 ; 4-byte Folded Reload
	;; [unrolled: 1-line block ×4, first 2 shown]
	v_addc_co_u32_e64 v31, s[0:1], v31, v1, s[0:1]
	global_store_dwordx4 v[30:31], v[4:7], off
	s_nop 0
	v_mul_f64 v[4:5], v[28:29], s[2:3]
	v_mul_f64 v[6:7], v[32:33], s[2:3]
	v_add_co_u32_e64 v30, s[0:1], s4, v30
	v_addc_co_u32_e64 v31, s[0:1], v31, v1, s[0:1]
	s_waitcnt vmcnt(1) lgkmcnt(1)
	v_mul_f64 v[34:35], v[40:41], v[26:27]
	v_mul_f64 v[36:37], v[40:41], v[24:25]
	v_fma_f64 v[24:25], v[38:39], v[24:25], v[34:35]
	v_fma_f64 v[26:27], v[38:39], v[26:27], -v[36:37]
	buffer_load_dword v34, off, s[36:39], 0 offset:188 ; 4-byte Folded Reload
	buffer_load_dword v35, off, s[36:39], 0 offset:192 ; 4-byte Folded Reload
	;; [unrolled: 1-line block ×4, first 2 shown]
	s_waitcnt vmcnt(0)
	v_mul_f64 v[28:29], v[36:37], v[10:11]
	v_mul_f64 v[32:33], v[36:37], v[8:9]
	global_store_dwordx4 v[30:31], v[4:7], off
	v_fma_f64 v[8:9], v[34:35], v[8:9], v[28:29]
	v_fma_f64 v[10:11], v[34:35], v[10:11], -v[32:33]
	buffer_load_dword v32, off, s[36:39], 0 offset:204 ; 4-byte Folded Reload
	buffer_load_dword v33, off, s[36:39], 0 offset:208 ; 4-byte Folded Reload
	;; [unrolled: 1-line block ×4, first 2 shown]
	v_mul_f64 v[4:5], v[24:25], s[2:3]
	v_mul_f64 v[6:7], v[26:27], s[2:3]
	v_add_co_u32_e64 v28, s[0:1], s4, v30
	v_addc_co_u32_e64 v29, s[0:1], v31, v1, s[0:1]
	global_store_dwordx4 v[28:29], v[4:7], off
	s_nop 0
	v_mul_f64 v[4:5], v[8:9], s[2:3]
	v_mul_f64 v[6:7], v[10:11], s[2:3]
	s_waitcnt vmcnt(1)
	v_mul_f64 v[24:25], v[34:35], v[14:15]
	v_mul_f64 v[26:27], v[34:35], v[12:13]
	v_fma_f64 v[8:9], v[32:33], v[12:13], v[24:25]
	v_fma_f64 v[10:11], v[32:33], v[14:15], -v[26:27]
	buffer_load_dword v30, off, s[36:39], 0 offset:252 ; 4-byte Folded Reload
	buffer_load_dword v31, off, s[36:39], 0 offset:256 ; 4-byte Folded Reload
	;; [unrolled: 1-line block ×4, first 2 shown]
	v_add_co_u32_e64 v24, s[0:1], s10, v28
	v_addc_co_u32_e64 v25, s[0:1], v29, v0, s[0:1]
	global_store_dwordx4 v[24:25], v[4:7], off
	buffer_load_dword v26, off, s[36:39], 0 offset:236 ; 4-byte Folded Reload
	buffer_load_dword v27, off, s[36:39], 0 offset:240 ; 4-byte Folded Reload
	;; [unrolled: 1-line block ×4, first 2 shown]
	v_mul_f64 v[4:5], v[8:9], s[2:3]
	v_mul_f64 v[6:7], v[10:11], s[2:3]
	s_waitcnt vmcnt(5)
	v_mul_f64 v[12:13], v[32:33], v[18:19]
	v_mul_f64 v[14:15], v[32:33], v[16:17]
	v_fma_f64 v[8:9], v[30:31], v[16:17], v[12:13]
	v_fma_f64 v[12:13], v[30:31], v[18:19], -v[14:15]
	s_waitcnt vmcnt(0) lgkmcnt(0)
	v_mul_f64 v[14:15], v[28:29], v[22:23]
	v_add_co_u32_e64 v18, s[0:1], s4, v24
	v_addc_co_u32_e64 v19, s[0:1], v25, v1, s[0:1]
	global_store_dwordx4 v[18:19], v[4:7], off
	v_mul_f64 v[16:17], v[28:29], v[20:21]
	v_mul_f64 v[4:5], v[8:9], s[2:3]
	ds_read_b128 v[8:11], v192 offset:3584
	v_mul_f64 v[6:7], v[12:13], s[2:3]
	v_fma_f64 v[20:21], v[26:27], v[20:21], v[14:15]
	ds_read_b128 v[12:15], v192 offset:4480
	buffer_load_dword v30, off, s[36:39], 0 offset:540 ; 4-byte Folded Reload
	buffer_load_dword v31, off, s[36:39], 0 offset:544 ; 4-byte Folded Reload
	;; [unrolled: 1-line block ×4, first 2 shown]
	v_add_co_u32_e64 v28, s[0:1], s4, v18
	v_fma_f64 v[22:23], v[26:27], v[22:23], -v[16:17]
	v_addc_co_u32_e64 v29, s[0:1], v19, v1, s[0:1]
	global_store_dwordx4 v[28:29], v[4:7], off
	ds_read_b128 v[16:19], v192 offset:11424
	v_mul_f64 v[4:5], v[20:21], s[2:3]
	v_add_co_u32_e64 v28, s[0:1], s4, v28
	v_mul_f64 v[6:7], v[22:23], s[2:3]
	v_addc_co_u32_e64 v29, s[0:1], v29, v1, s[0:1]
	s_waitcnt vmcnt(1) lgkmcnt(2)
	v_mul_f64 v[24:25], v[32:33], v[10:11]
	v_mul_f64 v[26:27], v[32:33], v[8:9]
	v_fma_f64 v[20:21], v[30:31], v[8:9], v[24:25]
	v_fma_f64 v[22:23], v[30:31], v[10:11], -v[26:27]
	ds_read_b128 v[8:11], v192 offset:12320
	buffer_load_dword v30, off, s[36:39], 0 offset:524 ; 4-byte Folded Reload
	buffer_load_dword v31, off, s[36:39], 0 offset:528 ; 4-byte Folded Reload
	;; [unrolled: 1-line block ×4, first 2 shown]
	s_waitcnt vmcnt(0) lgkmcnt(1)
	v_mul_f64 v[24:25], v[32:33], v[18:19]
	v_mul_f64 v[26:27], v[32:33], v[16:17]
	global_store_dwordx4 v[28:29], v[4:7], off
	v_add_co_u32_e64 v28, s[0:1], s10, v28
	v_mul_f64 v[4:5], v[20:21], s[2:3]
	v_mul_f64 v[6:7], v[22:23], s[2:3]
	ds_read_b128 v[20:23], v192 offset:19264
	v_fma_f64 v[24:25], v[30:31], v[16:17], v[24:25]
	v_fma_f64 v[30:31], v[30:31], v[18:19], -v[26:27]
	ds_read_b128 v[16:19], v192 offset:20160
	buffer_load_dword v36, off, s[36:39], 0 offset:492 ; 4-byte Folded Reload
	buffer_load_dword v37, off, s[36:39], 0 offset:496 ; 4-byte Folded Reload
	;; [unrolled: 1-line block ×4, first 2 shown]
	v_addc_co_u32_e64 v29, s[0:1], v29, v0, s[0:1]
	global_store_dwordx4 v[28:29], v[4:7], off
	v_add_co_u32_e64 v28, s[0:1], s4, v28
	v_mul_f64 v[4:5], v[24:25], s[2:3]
	ds_read_b128 v[24:27], v192 offset:27104
	v_mul_f64 v[6:7], v[30:31], s[2:3]
	v_addc_co_u32_e64 v29, s[0:1], v29, v1, s[0:1]
	s_waitcnt vmcnt(1) lgkmcnt(2)
	v_mul_f64 v[32:33], v[38:39], v[22:23]
	v_mul_f64 v[34:35], v[38:39], v[20:21]
	v_fma_f64 v[30:31], v[36:37], v[20:21], v[32:33]
	v_fma_f64 v[32:33], v[36:37], v[22:23], -v[34:35]
	ds_read_b128 v[20:23], v192 offset:28000
	buffer_load_dword v38, off, s[36:39], 0 offset:508 ; 4-byte Folded Reload
	buffer_load_dword v39, off, s[36:39], 0 offset:512 ; 4-byte Folded Reload
	;; [unrolled: 1-line block ×4, first 2 shown]
	s_waitcnt vmcnt(0) lgkmcnt(1)
	v_mul_f64 v[34:35], v[40:41], v[26:27]
	v_mul_f64 v[36:37], v[40:41], v[24:25]
	global_store_dwordx4 v[28:29], v[4:7], off
	v_add_co_u32_e64 v28, s[0:1], s4, v28
	v_mul_f64 v[4:5], v[30:31], s[2:3]
	v_mul_f64 v[6:7], v[32:33], s[2:3]
	v_addc_co_u32_e64 v29, s[0:1], v29, v1, s[0:1]
	v_fma_f64 v[24:25], v[38:39], v[24:25], v[34:35]
	v_fma_f64 v[26:27], v[38:39], v[26:27], -v[36:37]
	buffer_load_dword v34, off, s[36:39], 0 offset:476 ; 4-byte Folded Reload
	buffer_load_dword v35, off, s[36:39], 0 offset:480 ; 4-byte Folded Reload
	;; [unrolled: 1-line block ×4, first 2 shown]
	s_waitcnt vmcnt(0)
	v_mul_f64 v[30:31], v[36:37], v[14:15]
	v_mul_f64 v[32:33], v[36:37], v[12:13]
	global_store_dwordx4 v[28:29], v[4:7], off
	v_add_co_u32_e64 v28, s[0:1], s4, v28
	v_mul_f64 v[4:5], v[24:25], s[2:3]
	v_mul_f64 v[6:7], v[26:27], s[2:3]
	v_addc_co_u32_e64 v29, s[0:1], v29, v1, s[0:1]
	v_fma_f64 v[12:13], v[34:35], v[12:13], v[30:31]
	v_fma_f64 v[14:15], v[34:35], v[14:15], -v[32:33]
	buffer_load_dword v30, off, s[36:39], 0 offset:460 ; 4-byte Folded Reload
	buffer_load_dword v31, off, s[36:39], 0 offset:464 ; 4-byte Folded Reload
	;; [unrolled: 1-line block ×4, first 2 shown]
	s_waitcnt vmcnt(0)
	v_mul_f64 v[24:25], v[32:33], v[10:11]
	v_mul_f64 v[26:27], v[32:33], v[8:9]
	global_store_dwordx4 v[28:29], v[4:7], off
	v_fma_f64 v[8:9], v[30:31], v[8:9], v[24:25]
	v_mul_f64 v[4:5], v[12:13], s[2:3]
	v_mul_f64 v[6:7], v[14:15], s[2:3]
	v_fma_f64 v[10:11], v[30:31], v[10:11], -v[26:27]
	buffer_load_dword v30, off, s[36:39], 0 offset:444 ; 4-byte Folded Reload
	buffer_load_dword v31, off, s[36:39], 0 offset:448 ; 4-byte Folded Reload
	;; [unrolled: 1-line block ×4, first 2 shown]
	v_add_co_u32_e64 v24, s[0:1], s10, v28
	v_addc_co_u32_e64 v25, s[0:1], v29, v0, s[0:1]
	global_store_dwordx4 v[24:25], v[4:7], off
	buffer_load_dword v26, off, s[36:39], 0 offset:428 ; 4-byte Folded Reload
	buffer_load_dword v27, off, s[36:39], 0 offset:432 ; 4-byte Folded Reload
	;; [unrolled: 1-line block ×4, first 2 shown]
	v_mul_f64 v[4:5], v[8:9], s[2:3]
	v_mul_f64 v[6:7], v[10:11], s[2:3]
	s_waitcnt vmcnt(5)
	v_mul_f64 v[12:13], v[32:33], v[18:19]
	v_mul_f64 v[14:15], v[32:33], v[16:17]
	v_fma_f64 v[8:9], v[30:31], v[16:17], v[12:13]
	v_fma_f64 v[12:13], v[30:31], v[18:19], -v[14:15]
	s_waitcnt vmcnt(0) lgkmcnt(0)
	v_mul_f64 v[14:15], v[28:29], v[22:23]
	v_add_co_u32_e64 v18, s[0:1], s4, v24
	v_addc_co_u32_e64 v19, s[0:1], v25, v1, s[0:1]
	global_store_dwordx4 v[18:19], v[4:7], off
	v_mul_f64 v[16:17], v[28:29], v[20:21]
	v_mul_f64 v[4:5], v[8:9], s[2:3]
	ds_read_b128 v[8:11], v192 offset:5376
	v_mul_f64 v[6:7], v[12:13], s[2:3]
	v_fma_f64 v[20:21], v[26:27], v[20:21], v[14:15]
	ds_read_b128 v[12:15], v192 offset:6272
	buffer_load_dword v30, off, s[36:39], 0 offset:412 ; 4-byte Folded Reload
	buffer_load_dword v31, off, s[36:39], 0 offset:416 ; 4-byte Folded Reload
	;; [unrolled: 1-line block ×4, first 2 shown]
	v_add_co_u32_e64 v28, s[0:1], s4, v18
	v_fma_f64 v[22:23], v[26:27], v[22:23], -v[16:17]
	v_addc_co_u32_e64 v29, s[0:1], v19, v1, s[0:1]
	global_store_dwordx4 v[28:29], v[4:7], off
	ds_read_b128 v[16:19], v192 offset:13216
	v_mul_f64 v[4:5], v[20:21], s[2:3]
	v_add_co_u32_e64 v28, s[0:1], s4, v28
	v_mul_f64 v[6:7], v[22:23], s[2:3]
	v_addc_co_u32_e64 v29, s[0:1], v29, v1, s[0:1]
	s_waitcnt vmcnt(1) lgkmcnt(2)
	v_mul_f64 v[24:25], v[32:33], v[10:11]
	v_mul_f64 v[26:27], v[32:33], v[8:9]
	v_fma_f64 v[20:21], v[30:31], v[8:9], v[24:25]
	v_fma_f64 v[22:23], v[30:31], v[10:11], -v[26:27]
	ds_read_b128 v[8:11], v192 offset:14112
	buffer_load_dword v30, off, s[36:39], 0 offset:396 ; 4-byte Folded Reload
	buffer_load_dword v31, off, s[36:39], 0 offset:400 ; 4-byte Folded Reload
	;; [unrolled: 1-line block ×4, first 2 shown]
	s_waitcnt vmcnt(0) lgkmcnt(1)
	v_mul_f64 v[24:25], v[32:33], v[18:19]
	v_mul_f64 v[26:27], v[32:33], v[16:17]
	global_store_dwordx4 v[28:29], v[4:7], off
	v_add_co_u32_e64 v28, s[0:1], s10, v28
	v_mul_f64 v[4:5], v[20:21], s[2:3]
	v_mul_f64 v[6:7], v[22:23], s[2:3]
	ds_read_b128 v[20:23], v192 offset:21056
	v_fma_f64 v[24:25], v[30:31], v[16:17], v[24:25]
	v_fma_f64 v[30:31], v[30:31], v[18:19], -v[26:27]
	ds_read_b128 v[16:19], v192 offset:21952
	buffer_load_dword v36, off, s[36:39], 0 offset:348 ; 4-byte Folded Reload
	buffer_load_dword v37, off, s[36:39], 0 offset:352 ; 4-byte Folded Reload
	;; [unrolled: 1-line block ×4, first 2 shown]
	v_addc_co_u32_e64 v29, s[0:1], v29, v0, s[0:1]
	global_store_dwordx4 v[28:29], v[4:7], off
	v_add_co_u32_e64 v28, s[0:1], s4, v28
	v_mul_f64 v[4:5], v[24:25], s[2:3]
	ds_read_b128 v[24:27], v192 offset:28896
	v_mul_f64 v[6:7], v[30:31], s[2:3]
	v_addc_co_u32_e64 v29, s[0:1], v29, v1, s[0:1]
	s_waitcnt vmcnt(1) lgkmcnt(2)
	v_mul_f64 v[32:33], v[38:39], v[22:23]
	v_mul_f64 v[34:35], v[38:39], v[20:21]
	v_fma_f64 v[30:31], v[36:37], v[20:21], v[32:33]
	v_fma_f64 v[32:33], v[36:37], v[22:23], -v[34:35]
	ds_read_b128 v[20:23], v192 offset:29792
	buffer_load_dword v38, off, s[36:39], 0 offset:332 ; 4-byte Folded Reload
	buffer_load_dword v39, off, s[36:39], 0 offset:336 ; 4-byte Folded Reload
	;; [unrolled: 1-line block ×4, first 2 shown]
	s_waitcnt vmcnt(0) lgkmcnt(1)
	v_mul_f64 v[34:35], v[40:41], v[26:27]
	v_mul_f64 v[36:37], v[40:41], v[24:25]
	global_store_dwordx4 v[28:29], v[4:7], off
	v_add_co_u32_e64 v28, s[0:1], s4, v28
	v_mul_f64 v[4:5], v[30:31], s[2:3]
	v_mul_f64 v[6:7], v[32:33], s[2:3]
	v_addc_co_u32_e64 v29, s[0:1], v29, v1, s[0:1]
	v_fma_f64 v[24:25], v[38:39], v[24:25], v[34:35]
	v_fma_f64 v[26:27], v[38:39], v[26:27], -v[36:37]
	buffer_load_dword v34, off, s[36:39], 0 offset:76 ; 4-byte Folded Reload
	buffer_load_dword v35, off, s[36:39], 0 offset:80 ; 4-byte Folded Reload
	buffer_load_dword v36, off, s[36:39], 0 offset:84 ; 4-byte Folded Reload
	buffer_load_dword v37, off, s[36:39], 0 offset:88 ; 4-byte Folded Reload
	s_waitcnt vmcnt(0)
	v_mul_f64 v[30:31], v[36:37], v[14:15]
	v_mul_f64 v[32:33], v[36:37], v[12:13]
	global_store_dwordx4 v[28:29], v[4:7], off
	v_add_co_u32_e64 v28, s[0:1], s4, v28
	v_mul_f64 v[4:5], v[24:25], s[2:3]
	v_mul_f64 v[6:7], v[26:27], s[2:3]
	v_addc_co_u32_e64 v29, s[0:1], v29, v1, s[0:1]
	v_fma_f64 v[12:13], v[34:35], v[12:13], v[30:31]
	v_fma_f64 v[14:15], v[34:35], v[14:15], -v[32:33]
	buffer_load_dword v30, off, s[36:39], 0 offset:44 ; 4-byte Folded Reload
	buffer_load_dword v31, off, s[36:39], 0 offset:48 ; 4-byte Folded Reload
	buffer_load_dword v32, off, s[36:39], 0 offset:52 ; 4-byte Folded Reload
	buffer_load_dword v33, off, s[36:39], 0 offset:56 ; 4-byte Folded Reload
	s_waitcnt vmcnt(0)
	;; [unrolled: 14-line block ×3, first 2 shown]
	v_mul_f64 v[12:13], v[32:33], v[18:19]
	v_mul_f64 v[14:15], v[32:33], v[16:17]
	buffer_load_dword v32, off, s[36:39], 0 offset:364 ; 4-byte Folded Reload
	buffer_load_dword v33, off, s[36:39], 0 offset:368 ; 4-byte Folded Reload
	;; [unrolled: 1-line block ×4, first 2 shown]
	s_waitcnt vmcnt(0) lgkmcnt(0)
	v_mul_f64 v[24:25], v[34:35], v[22:23]
	v_mul_f64 v[26:27], v[34:35], v[20:21]
	global_store_dwordx4 v[28:29], v[4:7], off
	s_nop 0
	v_mul_f64 v[4:5], v[8:9], s[2:3]
	v_mul_f64 v[6:7], v[10:11], s[2:3]
	v_fma_f64 v[8:9], v[30:31], v[16:17], v[12:13]
	v_fma_f64 v[10:11], v[30:31], v[18:19], -v[14:15]
	v_fma_f64 v[12:13], v[32:33], v[20:21], v[24:25]
	v_fma_f64 v[14:15], v[32:33], v[22:23], -v[26:27]
	v_add_co_u32_e64 v16, s[0:1], s4, v28
	v_addc_co_u32_e64 v17, s[0:1], v29, v1, s[0:1]
	v_mul_f64 v[8:9], v[8:9], s[2:3]
	v_mul_f64 v[10:11], v[10:11], s[2:3]
	global_store_dwordx4 v[16:17], v[4:7], off
	s_nop 0
	v_mul_f64 v[4:5], v[12:13], s[2:3]
	v_mul_f64 v[6:7], v[14:15], s[2:3]
	v_add_co_u32_e64 v12, s[0:1], s4, v16
	v_addc_co_u32_e64 v13, s[0:1], v17, v1, s[0:1]
	v_add_co_u32_e64 v0, s[0:1], s4, v12
	v_addc_co_u32_e64 v1, s[0:1], v13, v1, s[0:1]
	global_store_dwordx4 v[12:13], v[8:11], off
	global_store_dwordx4 v[0:1], v[4:7], off
	buffer_load_dword v20, off, s[36:39], 0 ; 4-byte Folded Reload
	buffer_load_dword v21, off, s[36:39], 0 offset:4 ; 4-byte Folded Reload
	s_and_b64 s[0:1], exec, vcc
	s_mov_b64 exec, s[0:1]
	s_cbranch_execz .LBB0_23
; %bb.22:
	buffer_load_dword v4, off, s[36:39], 0 offset:32 ; 4-byte Folded Reload
	s_waitcnt vmcnt(2)
	v_mad_u64_u32 v[18:19], s[0:1], s8, v20, 0
	s_waitcnt vmcnt(0)
	global_load_dwordx4 v[4:7], v4, s[6:7]
	ds_read_b128 v[8:11], v192 offset:7168
	ds_read_b128 v[12:15], v192 offset:15008
	s_movk_i32 s6, 0x3000
	s_movk_i32 s7, 0x5000
	s_waitcnt vmcnt(0) lgkmcnt(1)
	v_mul_f64 v[16:17], v[10:11], v[6:7]
	v_mul_f64 v[6:7], v[8:9], v[6:7]
	v_fma_f64 v[8:9], v[8:9], v[4:5], v[16:17]
	buffer_load_dword v16, off, s[36:39], 0 offset:1668 ; 4-byte Folded Reload
	buffer_load_dword v17, off, s[36:39], 0 offset:1672 ; 4-byte Folded Reload
	v_fma_f64 v[6:7], v[4:5], v[10:11], -v[6:7]
	v_mov_b32_e32 v4, v19
	v_mad_u64_u32 v[10:11], s[0:1], s9, v20, v[4:5]
	v_mul_f64 v[4:5], v[8:9], s[2:3]
	v_mov_b32_e32 v19, v10
	v_lshlrev_b64 v[10:11], 4, v[18:19]
	v_mul_f64 v[6:7], v[6:7], s[2:3]
	s_waitcnt vmcnt(1)
	v_add_co_u32_e32 v8, vcc, s6, v16
	s_waitcnt vmcnt(0)
	v_addc_co_u32_e32 v9, vcc, 0, v17, vcc
	v_add_co_u32_e32 v2, vcc, v2, v10
	v_addc_co_u32_e32 v3, vcc, v3, v11, vcc
	global_store_dwordx4 v[2:3], v[4:7], off
	global_load_dwordx4 v[2:5], v[8:9], off offset:2720
	v_mov_b32_e32 v8, 0xffffc640
	s_mul_i32 s6, s9, 0xffffc640
	s_waitcnt vmcnt(0) lgkmcnt(0)
	v_mul_f64 v[6:7], v[14:15], v[4:5]
	v_mul_f64 v[4:5], v[12:13], v[4:5]
	v_fma_f64 v[6:7], v[12:13], v[2:3], v[6:7]
	v_fma_f64 v[4:5], v[2:3], v[14:15], -v[4:5]
	v_mad_u64_u32 v[12:13], s[0:1], s8, v8, v[0:1]
	s_sub_i32 s0, s6, s8
	v_add_co_u32_e32 v0, vcc, s7, v16
	v_add_u32_e32 v13, s0, v13
	v_mul_f64 v[2:3], v[6:7], s[2:3]
	v_mul_f64 v[4:5], v[4:5], s[2:3]
	v_addc_co_u32_e32 v1, vcc, 0, v17, vcc
	s_movk_i32 s0, 0x7000
	global_store_dwordx4 v[12:13], v[2:5], off
	global_load_dwordx4 v[0:3], v[0:1], off offset:2368
	ds_read_b128 v[4:7], v192 offset:22848
	ds_read_b128 v[8:11], v192 offset:30688
	s_waitcnt vmcnt(0) lgkmcnt(1)
	v_mul_f64 v[14:15], v[6:7], v[2:3]
	v_mul_f64 v[2:3], v[4:5], v[2:3]
	v_fma_f64 v[4:5], v[4:5], v[0:1], v[14:15]
	v_fma_f64 v[2:3], v[0:1], v[6:7], -v[2:3]
	v_mov_b32_e32 v14, s5
	v_mul_f64 v[0:1], v[4:5], s[2:3]
	v_mul_f64 v[2:3], v[2:3], s[2:3]
	v_add_co_u32_e32 v4, vcc, s0, v16
	v_addc_co_u32_e32 v5, vcc, 0, v17, vcc
	v_add_co_u32_e32 v6, vcc, s4, v12
	v_addc_co_u32_e32 v7, vcc, v13, v14, vcc
	global_store_dwordx4 v[6:7], v[0:3], off
	global_load_dwordx4 v[0:3], v[4:5], off offset:2016
	s_waitcnt vmcnt(0) lgkmcnt(0)
	v_mul_f64 v[4:5], v[10:11], v[2:3]
	v_mul_f64 v[2:3], v[8:9], v[2:3]
	v_fma_f64 v[4:5], v[8:9], v[0:1], v[4:5]
	v_fma_f64 v[2:3], v[0:1], v[10:11], -v[2:3]
	v_mul_f64 v[0:1], v[4:5], s[2:3]
	v_mul_f64 v[2:3], v[2:3], s[2:3]
	v_add_co_u32_e32 v4, vcc, s4, v6
	v_addc_co_u32_e32 v5, vcc, v7, v14, vcc
	global_store_dwordx4 v[4:5], v[0:3], off
.LBB0_23:
	s_endpgm
	.section	.rodata,"a",@progbits
	.p2align	6, 0x0
	.amdhsa_kernel bluestein_single_back_len1960_dim1_dp_op_CI_CI
		.amdhsa_group_segment_fixed_size 31360
		.amdhsa_private_segment_fixed_size 1696
		.amdhsa_kernarg_size 104
		.amdhsa_user_sgpr_count 6
		.amdhsa_user_sgpr_private_segment_buffer 1
		.amdhsa_user_sgpr_dispatch_ptr 0
		.amdhsa_user_sgpr_queue_ptr 0
		.amdhsa_user_sgpr_kernarg_segment_ptr 1
		.amdhsa_user_sgpr_dispatch_id 0
		.amdhsa_user_sgpr_flat_scratch_init 0
		.amdhsa_user_sgpr_private_segment_size 0
		.amdhsa_uses_dynamic_stack 0
		.amdhsa_system_sgpr_private_segment_wavefront_offset 1
		.amdhsa_system_sgpr_workgroup_id_x 1
		.amdhsa_system_sgpr_workgroup_id_y 0
		.amdhsa_system_sgpr_workgroup_id_z 0
		.amdhsa_system_sgpr_workgroup_info 0
		.amdhsa_system_vgpr_workitem_id 0
		.amdhsa_next_free_vgpr 256
		.amdhsa_next_free_sgpr 40
		.amdhsa_reserve_vcc 1
		.amdhsa_reserve_flat_scratch 0
		.amdhsa_float_round_mode_32 0
		.amdhsa_float_round_mode_16_64 0
		.amdhsa_float_denorm_mode_32 3
		.amdhsa_float_denorm_mode_16_64 3
		.amdhsa_dx10_clamp 1
		.amdhsa_ieee_mode 1
		.amdhsa_fp16_overflow 0
		.amdhsa_exception_fp_ieee_invalid_op 0
		.amdhsa_exception_fp_denorm_src 0
		.amdhsa_exception_fp_ieee_div_zero 0
		.amdhsa_exception_fp_ieee_overflow 0
		.amdhsa_exception_fp_ieee_underflow 0
		.amdhsa_exception_fp_ieee_inexact 0
		.amdhsa_exception_int_div_zero 0
	.end_amdhsa_kernel
	.text
.Lfunc_end0:
	.size	bluestein_single_back_len1960_dim1_dp_op_CI_CI, .Lfunc_end0-bluestein_single_back_len1960_dim1_dp_op_CI_CI
                                        ; -- End function
	.section	.AMDGPU.csdata,"",@progbits
; Kernel info:
; codeLenInByte = 55048
; NumSgprs: 44
; NumVgprs: 256
; ScratchSize: 1696
; MemoryBound: 0
; FloatMode: 240
; IeeeMode: 1
; LDSByteSize: 31360 bytes/workgroup (compile time only)
; SGPRBlocks: 5
; VGPRBlocks: 63
; NumSGPRsForWavesPerEU: 44
; NumVGPRsForWavesPerEU: 256
; Occupancy: 1
; WaveLimiterHint : 1
; COMPUTE_PGM_RSRC2:SCRATCH_EN: 1
; COMPUTE_PGM_RSRC2:USER_SGPR: 6
; COMPUTE_PGM_RSRC2:TRAP_HANDLER: 0
; COMPUTE_PGM_RSRC2:TGID_X_EN: 1
; COMPUTE_PGM_RSRC2:TGID_Y_EN: 0
; COMPUTE_PGM_RSRC2:TGID_Z_EN: 0
; COMPUTE_PGM_RSRC2:TIDIG_COMP_CNT: 0
	.type	__hip_cuid_f47ef8045ccfb9f7,@object ; @__hip_cuid_f47ef8045ccfb9f7
	.section	.bss,"aw",@nobits
	.globl	__hip_cuid_f47ef8045ccfb9f7
__hip_cuid_f47ef8045ccfb9f7:
	.byte	0                               ; 0x0
	.size	__hip_cuid_f47ef8045ccfb9f7, 1

	.ident	"AMD clang version 19.0.0git (https://github.com/RadeonOpenCompute/llvm-project roc-6.4.0 25133 c7fe45cf4b819c5991fe208aaa96edf142730f1d)"
	.section	".note.GNU-stack","",@progbits
	.addrsig
	.addrsig_sym __hip_cuid_f47ef8045ccfb9f7
	.amdgpu_metadata
---
amdhsa.kernels:
  - .args:
      - .actual_access:  read_only
        .address_space:  global
        .offset:         0
        .size:           8
        .value_kind:     global_buffer
      - .actual_access:  read_only
        .address_space:  global
        .offset:         8
        .size:           8
        .value_kind:     global_buffer
      - .actual_access:  read_only
        .address_space:  global
        .offset:         16
        .size:           8
        .value_kind:     global_buffer
      - .actual_access:  read_only
        .address_space:  global
        .offset:         24
        .size:           8
        .value_kind:     global_buffer
      - .actual_access:  read_only
        .address_space:  global
        .offset:         32
        .size:           8
        .value_kind:     global_buffer
      - .offset:         40
        .size:           8
        .value_kind:     by_value
      - .address_space:  global
        .offset:         48
        .size:           8
        .value_kind:     global_buffer
      - .address_space:  global
        .offset:         56
        .size:           8
        .value_kind:     global_buffer
      - .address_space:  global
        .offset:         64
        .size:           8
        .value_kind:     global_buffer
      - .address_space:  global
        .offset:         72
        .size:           8
        .value_kind:     global_buffer
      - .offset:         80
        .size:           4
        .value_kind:     by_value
      - .address_space:  global
        .offset:         88
        .size:           8
        .value_kind:     global_buffer
      - .address_space:  global
        .offset:         96
        .size:           8
        .value_kind:     global_buffer
    .group_segment_fixed_size: 31360
    .kernarg_segment_align: 8
    .kernarg_segment_size: 104
    .language:       OpenCL C
    .language_version:
      - 2
      - 0
    .max_flat_workgroup_size: 56
    .name:           bluestein_single_back_len1960_dim1_dp_op_CI_CI
    .private_segment_fixed_size: 1696
    .sgpr_count:     44
    .sgpr_spill_count: 0
    .symbol:         bluestein_single_back_len1960_dim1_dp_op_CI_CI.kd
    .uniform_work_group_size: 1
    .uses_dynamic_stack: false
    .vgpr_count:     256
    .vgpr_spill_count: 430
    .wavefront_size: 64
amdhsa.target:   amdgcn-amd-amdhsa--gfx906
amdhsa.version:
  - 1
  - 2
...

	.end_amdgpu_metadata
